;; amdgpu-corpus repo=ROCm/rocFFT kind=compiled arch=gfx1201 opt=O3
	.text
	.amdgcn_target "amdgcn-amd-amdhsa--gfx1201"
	.amdhsa_code_object_version 6
	.protected	fft_rtc_back_len1428_factors_17_2_7_6_wgs_119_tpt_119_halfLds_dp_op_CI_CI_unitstride_sbrr_C2R_dirReg ; -- Begin function fft_rtc_back_len1428_factors_17_2_7_6_wgs_119_tpt_119_halfLds_dp_op_CI_CI_unitstride_sbrr_C2R_dirReg
	.globl	fft_rtc_back_len1428_factors_17_2_7_6_wgs_119_tpt_119_halfLds_dp_op_CI_CI_unitstride_sbrr_C2R_dirReg
	.p2align	8
	.type	fft_rtc_back_len1428_factors_17_2_7_6_wgs_119_tpt_119_halfLds_dp_op_CI_CI_unitstride_sbrr_C2R_dirReg,@function
fft_rtc_back_len1428_factors_17_2_7_6_wgs_119_tpt_119_halfLds_dp_op_CI_CI_unitstride_sbrr_C2R_dirReg: ; @fft_rtc_back_len1428_factors_17_2_7_6_wgs_119_tpt_119_halfLds_dp_op_CI_CI_unitstride_sbrr_C2R_dirReg
; %bb.0:
	s_clause 0x2
	s_load_b128 s[8:11], s[0:1], 0x0
	s_load_b128 s[4:7], s[0:1], 0x58
	;; [unrolled: 1-line block ×3, first 2 shown]
	v_mul_u32_u24_e32 v1, 0x227, v0
	v_mov_b32_e32 v3, 0
	s_delay_alu instid0(VALU_DEP_2) | instskip(NEXT) | instid1(VALU_DEP_1)
	v_lshrrev_b32_e32 v1, 16, v1
	v_add_nc_u32_e32 v5, ttmp9, v1
	v_mov_b32_e32 v1, 0
	v_mov_b32_e32 v2, 0
	;; [unrolled: 1-line block ×3, first 2 shown]
	s_wait_kmcnt 0x0
	v_cmp_lt_u64_e64 s2, s[10:11], 2
	s_delay_alu instid0(VALU_DEP_1)
	s_and_b32 vcc_lo, exec_lo, s2
	s_cbranch_vccnz .LBB0_8
; %bb.1:
	s_load_b64 s[2:3], s[0:1], 0x10
	v_mov_b32_e32 v1, 0
	v_mov_b32_e32 v2, 0
	s_add_nc_u64 s[16:17], s[14:15], 8
	s_add_nc_u64 s[18:19], s[12:13], 8
	s_mov_b64 s[20:21], 1
	s_delay_alu instid0(VALU_DEP_1)
	v_dual_mov_b32 v77, v2 :: v_dual_mov_b32 v76, v1
	s_wait_kmcnt 0x0
	s_add_nc_u64 s[22:23], s[2:3], 8
	s_mov_b32 s3, 0
.LBB0_2:                                ; =>This Inner Loop Header: Depth=1
	s_load_b64 s[24:25], s[22:23], 0x0
                                        ; implicit-def: $vgpr80_vgpr81
	s_mov_b32 s2, exec_lo
	s_wait_kmcnt 0x0
	v_or_b32_e32 v4, s25, v6
	s_delay_alu instid0(VALU_DEP_1)
	v_cmpx_ne_u64_e32 0, v[3:4]
	s_wait_alu 0xfffe
	s_xor_b32 s26, exec_lo, s2
	s_cbranch_execz .LBB0_4
; %bb.3:                                ;   in Loop: Header=BB0_2 Depth=1
	s_cvt_f32_u32 s2, s24
	s_cvt_f32_u32 s27, s25
	s_sub_nc_u64 s[30:31], 0, s[24:25]
	s_wait_alu 0xfffe
	s_delay_alu instid0(SALU_CYCLE_1) | instskip(SKIP_1) | instid1(SALU_CYCLE_2)
	s_fmamk_f32 s2, s27, 0x4f800000, s2
	s_wait_alu 0xfffe
	v_s_rcp_f32 s2, s2
	s_delay_alu instid0(TRANS32_DEP_1) | instskip(SKIP_1) | instid1(SALU_CYCLE_2)
	s_mul_f32 s2, s2, 0x5f7ffffc
	s_wait_alu 0xfffe
	s_mul_f32 s27, s2, 0x2f800000
	s_wait_alu 0xfffe
	s_delay_alu instid0(SALU_CYCLE_2) | instskip(SKIP_1) | instid1(SALU_CYCLE_2)
	s_trunc_f32 s27, s27
	s_wait_alu 0xfffe
	s_fmamk_f32 s2, s27, 0xcf800000, s2
	s_cvt_u32_f32 s29, s27
	s_wait_alu 0xfffe
	s_delay_alu instid0(SALU_CYCLE_1) | instskip(SKIP_1) | instid1(SALU_CYCLE_2)
	s_cvt_u32_f32 s28, s2
	s_wait_alu 0xfffe
	s_mul_u64 s[34:35], s[30:31], s[28:29]
	s_wait_alu 0xfffe
	s_mul_hi_u32 s37, s28, s35
	s_mul_i32 s36, s28, s35
	s_mul_hi_u32 s2, s28, s34
	s_mul_i32 s33, s29, s34
	s_wait_alu 0xfffe
	s_add_nc_u64 s[36:37], s[2:3], s[36:37]
	s_mul_hi_u32 s27, s29, s34
	s_mul_hi_u32 s38, s29, s35
	s_add_co_u32 s2, s36, s33
	s_wait_alu 0xfffe
	s_add_co_ci_u32 s2, s37, s27
	s_mul_i32 s34, s29, s35
	s_add_co_ci_u32 s35, s38, 0
	s_wait_alu 0xfffe
	s_add_nc_u64 s[34:35], s[2:3], s[34:35]
	s_wait_alu 0xfffe
	v_add_co_u32 v4, s2, s28, s34
	s_delay_alu instid0(VALU_DEP_1) | instskip(SKIP_1) | instid1(VALU_DEP_1)
	s_cmp_lg_u32 s2, 0
	s_add_co_ci_u32 s29, s29, s35
	v_readfirstlane_b32 s28, v4
	s_wait_alu 0xfffe
	s_delay_alu instid0(VALU_DEP_1)
	s_mul_u64 s[30:31], s[30:31], s[28:29]
	s_wait_alu 0xfffe
	s_mul_hi_u32 s35, s28, s31
	s_mul_i32 s34, s28, s31
	s_mul_hi_u32 s2, s28, s30
	s_mul_i32 s33, s29, s30
	s_wait_alu 0xfffe
	s_add_nc_u64 s[34:35], s[2:3], s[34:35]
	s_mul_hi_u32 s27, s29, s30
	s_mul_hi_u32 s28, s29, s31
	s_wait_alu 0xfffe
	s_add_co_u32 s2, s34, s33
	s_add_co_ci_u32 s2, s35, s27
	s_mul_i32 s30, s29, s31
	s_add_co_ci_u32 s31, s28, 0
	s_wait_alu 0xfffe
	s_add_nc_u64 s[30:31], s[2:3], s[30:31]
	s_wait_alu 0xfffe
	v_add_co_u32 v4, s2, v4, s30
	s_delay_alu instid0(VALU_DEP_1) | instskip(SKIP_1) | instid1(VALU_DEP_1)
	s_cmp_lg_u32 s2, 0
	s_add_co_ci_u32 s2, s29, s31
	v_mul_hi_u32 v13, v5, v4
	s_wait_alu 0xfffe
	v_mad_co_u64_u32 v[7:8], null, v5, s2, 0
	v_mad_co_u64_u32 v[9:10], null, v6, v4, 0
	;; [unrolled: 1-line block ×3, first 2 shown]
	s_delay_alu instid0(VALU_DEP_3) | instskip(SKIP_1) | instid1(VALU_DEP_4)
	v_add_co_u32 v4, vcc_lo, v13, v7
	s_wait_alu 0xfffd
	v_add_co_ci_u32_e32 v7, vcc_lo, 0, v8, vcc_lo
	s_delay_alu instid0(VALU_DEP_2) | instskip(SKIP_1) | instid1(VALU_DEP_2)
	v_add_co_u32 v4, vcc_lo, v4, v9
	s_wait_alu 0xfffd
	v_add_co_ci_u32_e32 v4, vcc_lo, v7, v10, vcc_lo
	s_wait_alu 0xfffd
	v_add_co_ci_u32_e32 v7, vcc_lo, 0, v12, vcc_lo
	s_delay_alu instid0(VALU_DEP_2) | instskip(SKIP_1) | instid1(VALU_DEP_2)
	v_add_co_u32 v4, vcc_lo, v4, v11
	s_wait_alu 0xfffd
	v_add_co_ci_u32_e32 v9, vcc_lo, 0, v7, vcc_lo
	s_delay_alu instid0(VALU_DEP_2) | instskip(SKIP_1) | instid1(VALU_DEP_3)
	v_mul_lo_u32 v10, s25, v4
	v_mad_co_u64_u32 v[7:8], null, s24, v4, 0
	v_mul_lo_u32 v11, s24, v9
	s_delay_alu instid0(VALU_DEP_2) | instskip(NEXT) | instid1(VALU_DEP_2)
	v_sub_co_u32 v7, vcc_lo, v5, v7
	v_add3_u32 v8, v8, v11, v10
	s_delay_alu instid0(VALU_DEP_1) | instskip(SKIP_1) | instid1(VALU_DEP_1)
	v_sub_nc_u32_e32 v10, v6, v8
	s_wait_alu 0xfffd
	v_subrev_co_ci_u32_e64 v10, s2, s25, v10, vcc_lo
	v_add_co_u32 v11, s2, v4, 2
	s_wait_alu 0xf1ff
	v_add_co_ci_u32_e64 v12, s2, 0, v9, s2
	v_sub_co_u32 v13, s2, v7, s24
	v_sub_co_ci_u32_e32 v8, vcc_lo, v6, v8, vcc_lo
	s_wait_alu 0xf1ff
	v_subrev_co_ci_u32_e64 v10, s2, 0, v10, s2
	s_delay_alu instid0(VALU_DEP_3) | instskip(NEXT) | instid1(VALU_DEP_3)
	v_cmp_le_u32_e32 vcc_lo, s24, v13
	v_cmp_eq_u32_e64 s2, s25, v8
	s_wait_alu 0xfffd
	v_cndmask_b32_e64 v13, 0, -1, vcc_lo
	v_cmp_le_u32_e32 vcc_lo, s25, v10
	s_wait_alu 0xfffd
	v_cndmask_b32_e64 v14, 0, -1, vcc_lo
	v_cmp_le_u32_e32 vcc_lo, s24, v7
	;; [unrolled: 3-line block ×3, first 2 shown]
	s_wait_alu 0xfffd
	v_cndmask_b32_e64 v15, 0, -1, vcc_lo
	v_cmp_eq_u32_e32 vcc_lo, s25, v10
	s_wait_alu 0xf1ff
	s_delay_alu instid0(VALU_DEP_2)
	v_cndmask_b32_e64 v7, v15, v7, s2
	s_wait_alu 0xfffd
	v_cndmask_b32_e32 v10, v14, v13, vcc_lo
	v_add_co_u32 v13, vcc_lo, v4, 1
	s_wait_alu 0xfffd
	v_add_co_ci_u32_e32 v14, vcc_lo, 0, v9, vcc_lo
	s_delay_alu instid0(VALU_DEP_3) | instskip(SKIP_1) | instid1(VALU_DEP_2)
	v_cmp_ne_u32_e32 vcc_lo, 0, v10
	s_wait_alu 0xfffd
	v_cndmask_b32_e32 v8, v14, v12, vcc_lo
	v_cndmask_b32_e32 v10, v13, v11, vcc_lo
	v_cmp_ne_u32_e32 vcc_lo, 0, v7
	s_wait_alu 0xfffd
	s_delay_alu instid0(VALU_DEP_2)
	v_dual_cndmask_b32 v81, v9, v8 :: v_dual_cndmask_b32 v80, v4, v10
.LBB0_4:                                ;   in Loop: Header=BB0_2 Depth=1
	s_wait_alu 0xfffe
	s_and_not1_saveexec_b32 s2, s26
	s_cbranch_execz .LBB0_6
; %bb.5:                                ;   in Loop: Header=BB0_2 Depth=1
	v_cvt_f32_u32_e32 v4, s24
	s_sub_co_i32 s26, 0, s24
	v_mov_b32_e32 v81, v3
	s_delay_alu instid0(VALU_DEP_2) | instskip(NEXT) | instid1(TRANS32_DEP_1)
	v_rcp_iflag_f32_e32 v4, v4
	v_mul_f32_e32 v4, 0x4f7ffffe, v4
	s_delay_alu instid0(VALU_DEP_1) | instskip(SKIP_1) | instid1(VALU_DEP_1)
	v_cvt_u32_f32_e32 v4, v4
	s_wait_alu 0xfffe
	v_mul_lo_u32 v7, s26, v4
	s_delay_alu instid0(VALU_DEP_1) | instskip(NEXT) | instid1(VALU_DEP_1)
	v_mul_hi_u32 v7, v4, v7
	v_add_nc_u32_e32 v4, v4, v7
	s_delay_alu instid0(VALU_DEP_1) | instskip(NEXT) | instid1(VALU_DEP_1)
	v_mul_hi_u32 v4, v5, v4
	v_mul_lo_u32 v7, v4, s24
	v_add_nc_u32_e32 v8, 1, v4
	s_delay_alu instid0(VALU_DEP_2) | instskip(NEXT) | instid1(VALU_DEP_1)
	v_sub_nc_u32_e32 v7, v5, v7
	v_subrev_nc_u32_e32 v9, s24, v7
	v_cmp_le_u32_e32 vcc_lo, s24, v7
	s_wait_alu 0xfffd
	s_delay_alu instid0(VALU_DEP_2) | instskip(NEXT) | instid1(VALU_DEP_1)
	v_dual_cndmask_b32 v7, v7, v9 :: v_dual_cndmask_b32 v4, v4, v8
	v_cmp_le_u32_e32 vcc_lo, s24, v7
	s_delay_alu instid0(VALU_DEP_2) | instskip(SKIP_1) | instid1(VALU_DEP_1)
	v_add_nc_u32_e32 v8, 1, v4
	s_wait_alu 0xfffd
	v_cndmask_b32_e32 v80, v4, v8, vcc_lo
.LBB0_6:                                ;   in Loop: Header=BB0_2 Depth=1
	s_wait_alu 0xfffe
	s_or_b32 exec_lo, exec_lo, s2
	v_mul_lo_u32 v4, v81, s24
	s_delay_alu instid0(VALU_DEP_2)
	v_mul_lo_u32 v9, v80, s25
	s_load_b64 s[26:27], s[18:19], 0x0
	v_mad_co_u64_u32 v[7:8], null, v80, s24, 0
	s_load_b64 s[24:25], s[16:17], 0x0
	s_add_nc_u64 s[20:21], s[20:21], 1
	s_add_nc_u64 s[16:17], s[16:17], 8
	s_wait_alu 0xfffe
	v_cmp_ge_u64_e64 s2, s[20:21], s[10:11]
	s_add_nc_u64 s[18:19], s[18:19], 8
	s_add_nc_u64 s[22:23], s[22:23], 8
	v_add3_u32 v4, v8, v9, v4
	v_sub_co_u32 v5, vcc_lo, v5, v7
	s_wait_alu 0xfffd
	s_delay_alu instid0(VALU_DEP_2) | instskip(SKIP_2) | instid1(VALU_DEP_1)
	v_sub_co_ci_u32_e32 v4, vcc_lo, v6, v4, vcc_lo
	s_and_b32 vcc_lo, exec_lo, s2
	s_wait_kmcnt 0x0
	v_mul_lo_u32 v6, s26, v4
	v_mul_lo_u32 v7, s27, v5
	v_mad_co_u64_u32 v[1:2], null, s26, v5, v[1:2]
	v_mul_lo_u32 v4, s24, v4
	v_mul_lo_u32 v8, s25, v5
	v_mad_co_u64_u32 v[76:77], null, s24, v5, v[76:77]
	s_delay_alu instid0(VALU_DEP_4) | instskip(NEXT) | instid1(VALU_DEP_2)
	v_add3_u32 v2, v7, v2, v6
	v_add3_u32 v77, v8, v77, v4
	s_wait_alu 0xfffe
	s_cbranch_vccnz .LBB0_9
; %bb.7:                                ;   in Loop: Header=BB0_2 Depth=1
	v_dual_mov_b32 v5, v80 :: v_dual_mov_b32 v6, v81
	s_branch .LBB0_2
.LBB0_8:
	v_dual_mov_b32 v77, v2 :: v_dual_mov_b32 v76, v1
	v_dual_mov_b32 v81, v6 :: v_dual_mov_b32 v80, v5
.LBB0_9:
	s_load_b64 s[0:1], s[0:1], 0x28
	v_mul_hi_u32 v3, 0x226b903, v0
	s_lshl_b64 s[10:11], s[10:11], 3
                                        ; implicit-def: $vgpr78
	s_wait_alu 0xfffe
	s_add_nc_u64 s[2:3], s[14:15], s[10:11]
	s_wait_kmcnt 0x0
	v_cmp_gt_u64_e32 vcc_lo, s[0:1], v[80:81]
	v_cmp_le_u64_e64 s0, s[0:1], v[80:81]
	s_delay_alu instid0(VALU_DEP_1)
	s_and_saveexec_b32 s1, s0
	s_wait_alu 0xfffe
	s_xor_b32 s0, exec_lo, s1
; %bb.10:
	v_mul_u32_u24_e32 v1, 0x77, v3
                                        ; implicit-def: $vgpr3
	s_delay_alu instid0(VALU_DEP_1)
	v_sub_nc_u32_e32 v78, v0, v1
                                        ; implicit-def: $vgpr0
                                        ; implicit-def: $vgpr1_vgpr2
; %bb.11:
	s_wait_alu 0xfffe
	s_or_saveexec_b32 s1, s0
	s_load_b64 s[2:3], s[2:3], 0x0
	s_xor_b32 exec_lo, exec_lo, s1
	s_cbranch_execz .LBB0_15
; %bb.12:
	s_add_nc_u64 s[10:11], s[12:13], s[10:11]
	v_lshlrev_b64_e32 v[1:2], 4, v[1:2]
	s_load_b64 s[10:11], s[10:11], 0x0
	s_wait_kmcnt 0x0
	v_mul_lo_u32 v6, s11, v80
	v_mul_lo_u32 v7, s10, v81
	v_mad_co_u64_u32 v[4:5], null, s10, v80, 0
	s_delay_alu instid0(VALU_DEP_1) | instskip(SKIP_1) | instid1(VALU_DEP_2)
	v_add3_u32 v5, v5, v7, v6
	v_mul_u32_u24_e32 v6, 0x77, v3
	v_lshlrev_b64_e32 v[3:4], 4, v[4:5]
	s_delay_alu instid0(VALU_DEP_2) | instskip(NEXT) | instid1(VALU_DEP_1)
	v_sub_nc_u32_e32 v78, v0, v6
	v_lshlrev_b32_e32 v50, 4, v78
	s_delay_alu instid0(VALU_DEP_3) | instskip(SKIP_1) | instid1(VALU_DEP_4)
	v_add_co_u32 v0, s0, s4, v3
	s_wait_alu 0xf1ff
	v_add_co_ci_u32_e64 v3, s0, s5, v4, s0
	s_mov_b32 s4, exec_lo
	s_delay_alu instid0(VALU_DEP_2) | instskip(SKIP_1) | instid1(VALU_DEP_2)
	v_add_co_u32 v0, s0, v0, v1
	s_wait_alu 0xf1ff
	v_add_co_ci_u32_e64 v1, s0, v3, v2, s0
	s_delay_alu instid0(VALU_DEP_2) | instskip(SKIP_1) | instid1(VALU_DEP_2)
	v_add_co_u32 v46, s0, v0, v50
	s_wait_alu 0xf1ff
	v_add_co_ci_u32_e64 v47, s0, 0, v1, s0
	s_clause 0xb
	global_load_b128 v[2:5], v[46:47], off
	global_load_b128 v[6:9], v[46:47], off offset:1904
	global_load_b128 v[10:13], v[46:47], off offset:3808
	global_load_b128 v[14:17], v[46:47], off offset:5712
	global_load_b128 v[18:21], v[46:47], off offset:7616
	global_load_b128 v[22:25], v[46:47], off offset:9520
	global_load_b128 v[26:29], v[46:47], off offset:11424
	global_load_b128 v[30:33], v[46:47], off offset:13328
	global_load_b128 v[34:37], v[46:47], off offset:15232
	global_load_b128 v[38:41], v[46:47], off offset:17136
	global_load_b128 v[42:45], v[46:47], off offset:19040
	global_load_b128 v[46:49], v[46:47], off offset:20944
	v_add_nc_u32_e32 v50, 0, v50
	s_wait_loadcnt 0xb
	ds_store_b128 v50, v[2:5]
	s_wait_loadcnt 0xa
	ds_store_b128 v50, v[6:9] offset:1904
	s_wait_loadcnt 0x9
	ds_store_b128 v50, v[10:13] offset:3808
	;; [unrolled: 2-line block ×11, first 2 shown]
	v_cmpx_eq_u32_e32 0x76, v78
	s_cbranch_execz .LBB0_14
; %bb.13:
	global_load_b128 v[0:3], v[0:1], off offset:22848
	v_mov_b32_e32 v4, 0
	v_mov_b32_e32 v78, 0x76
	s_wait_loadcnt 0x0
	ds_store_b128 v4, v[0:3] offset:22848
.LBB0_14:
	s_wait_alu 0xfffe
	s_or_b32 exec_lo, exec_lo, s4
.LBB0_15:
	s_delay_alu instid0(SALU_CYCLE_1)
	s_or_b32 exec_lo, exec_lo, s1
	v_lshlrev_b32_e32 v0, 4, v78
	global_wb scope:SCOPE_SE
	s_wait_dscnt 0x0
	s_wait_kmcnt 0x0
	s_barrier_signal -1
	s_barrier_wait -1
	global_inv scope:SCOPE_SE
	v_add_nc_u32_e32 v210, 0, v0
	v_sub_nc_u32_e32 v10, 0, v0
	s_mov_b32 s1, exec_lo
                                        ; implicit-def: $vgpr4_vgpr5
	ds_load_b64 v[6:7], v210
	ds_load_b64 v[8:9], v10 offset:22848
	s_wait_dscnt 0x0
	v_add_f64_e32 v[0:1], v[6:7], v[8:9]
	v_add_f64_e64 v[2:3], v[6:7], -v[8:9]
	v_cmpx_ne_u32_e32 0, v78
	s_wait_alu 0xfffe
	s_xor_b32 s1, exec_lo, s1
	s_cbranch_execz .LBB0_17
; %bb.16:
	v_mov_b32_e32 v79, 0
	v_add_f64_e32 v[13:14], v[6:7], v[8:9]
	v_add_f64_e64 v[15:16], v[6:7], -v[8:9]
	s_delay_alu instid0(VALU_DEP_3) | instskip(NEXT) | instid1(VALU_DEP_1)
	v_lshlrev_b64_e32 v[0:1], 4, v[78:79]
	v_add_co_u32 v0, s0, s8, v0
	s_wait_alu 0xf1ff
	s_delay_alu instid0(VALU_DEP_2)
	v_add_co_ci_u32_e64 v1, s0, s9, v1, s0
	global_load_b128 v[2:5], v[0:1], off offset:22576
	ds_load_b64 v[0:1], v10 offset:22856
	ds_load_b64 v[11:12], v210 offset:8
	s_wait_dscnt 0x0
	v_add_f64_e32 v[6:7], v[0:1], v[11:12]
	v_add_f64_e64 v[0:1], v[11:12], -v[0:1]
	s_wait_loadcnt 0x0
	v_fma_f64 v[8:9], v[15:16], v[4:5], v[13:14]
	v_fma_f64 v[11:12], -v[15:16], v[4:5], v[13:14]
	s_delay_alu instid0(VALU_DEP_3) | instskip(SKIP_1) | instid1(VALU_DEP_4)
	v_fma_f64 v[13:14], v[6:7], v[4:5], -v[0:1]
	v_fma_f64 v[4:5], v[6:7], v[4:5], v[0:1]
	v_fma_f64 v[0:1], -v[6:7], v[2:3], v[8:9]
	s_delay_alu instid0(VALU_DEP_4) | instskip(NEXT) | instid1(VALU_DEP_4)
	v_fma_f64 v[6:7], v[6:7], v[2:3], v[11:12]
	v_fma_f64 v[8:9], v[15:16], v[2:3], v[13:14]
	s_delay_alu instid0(VALU_DEP_4)
	v_fma_f64 v[2:3], v[15:16], v[2:3], v[4:5]
	v_dual_mov_b32 v4, v78 :: v_dual_mov_b32 v5, v79
	ds_store_b128 v10, v[6:9] offset:22848
.LBB0_17:
	s_wait_alu 0xfffe
	s_and_not1_saveexec_b32 s0, s1
	s_cbranch_execz .LBB0_19
; %bb.18:
	v_mov_b32_e32 v8, 0
	ds_load_b128 v[4:7], v8 offset:11424
	s_wait_dscnt 0x0
	v_add_f64_e32 v[11:12], v[4:5], v[4:5]
	v_mul_f64_e32 v[13:14], -2.0, v[6:7]
	v_mov_b32_e32 v4, 0
	v_mov_b32_e32 v5, 0
	ds_store_b128 v8, v[11:14] offset:11424
.LBB0_19:
	s_wait_alu 0xfffe
	s_or_b32 exec_lo, exec_lo, s0
	v_lshlrev_b64_e32 v[4:5], 4, v[4:5]
	s_add_nc_u64 s[0:1], s[8:9], 0x5830
	s_mov_b32 s12, 0xeb564b22
	s_mov_b32 s4, 0x3259b75e
	;; [unrolled: 1-line block ×4, first 2 shown]
	s_wait_alu 0xfffe
	v_add_co_u32 v23, s0, s0, v4
	s_wait_alu 0xf1ff
	v_add_co_ci_u32_e64 v24, s0, s1, v5, s0
	s_mov_b32 s13, 0xbfefdd0d
	s_mov_b32 s5, 0x3fb79ee6
	;; [unrolled: 1-line block ×3, first 2 shown]
	s_clause 0x1
	global_load_b128 v[4:7], v[23:24], off offset:1904
	global_load_b128 v[11:14], v[23:24], off offset:3808
	ds_store_b128 v210, v[0:3]
	ds_load_b128 v[0:3], v210 offset:1904
	ds_load_b128 v[15:18], v10 offset:20944
	global_load_b128 v[19:22], v[23:24], off offset:5712
	s_mov_b32 s11, 0xbfd183b1
	s_mov_b32 s28, 0xacd6c6b4
	;; [unrolled: 1-line block ×18, first 2 shown]
	s_wait_dscnt 0x0
	v_add_f64_e32 v[8:9], v[0:1], v[15:16]
	v_add_f64_e32 v[25:26], v[17:18], v[2:3]
	v_add_f64_e64 v[15:16], v[0:1], -v[15:16]
	v_add_f64_e64 v[0:1], v[2:3], -v[17:18]
	s_mov_b32 s50, 0x7c9e640b
	s_mov_b32 s35, 0x3fd71e95
	;; [unrolled: 1-line block ×7, first 2 shown]
	s_wait_alu 0xfffe
	s_mov_b32 s48, s26
	s_mov_b32 s46, s12
	;; [unrolled: 1-line block ×10, first 2 shown]
	s_mov_b32 s33, exec_lo
	s_wait_loadcnt 0x2
	s_delay_alu instid0(VALU_DEP_2) | instskip(NEXT) | instid1(VALU_DEP_2)
	v_fma_f64 v[2:3], v[15:16], v[6:7], v[8:9]
	v_fma_f64 v[17:18], v[25:26], v[6:7], v[0:1]
	v_fma_f64 v[8:9], -v[15:16], v[6:7], v[8:9]
	v_fma_f64 v[27:28], v[25:26], v[6:7], -v[0:1]
	s_delay_alu instid0(VALU_DEP_4) | instskip(NEXT) | instid1(VALU_DEP_4)
	v_fma_f64 v[0:1], -v[25:26], v[4:5], v[2:3]
	v_fma_f64 v[2:3], v[15:16], v[4:5], v[17:18]
	s_delay_alu instid0(VALU_DEP_4) | instskip(NEXT) | instid1(VALU_DEP_4)
	v_fma_f64 v[6:7], v[25:26], v[4:5], v[8:9]
	v_fma_f64 v[8:9], v[15:16], v[4:5], v[27:28]
	ds_store_b128 v210, v[0:3] offset:1904
	ds_store_b128 v10, v[6:9] offset:20944
	ds_load_b128 v[0:3], v210 offset:3808
	ds_load_b128 v[4:7], v10 offset:19040
	global_load_b128 v[15:18], v[23:24], off offset:7616
	s_wait_dscnt 0x0
	v_add_f64_e32 v[8:9], v[0:1], v[4:5]
	v_add_f64_e32 v[25:26], v[6:7], v[2:3]
	v_add_f64_e64 v[27:28], v[0:1], -v[4:5]
	v_add_f64_e64 v[0:1], v[2:3], -v[6:7]
	s_wait_loadcnt 0x2
	s_delay_alu instid0(VALU_DEP_2) | instskip(NEXT) | instid1(VALU_DEP_2)
	v_fma_f64 v[2:3], v[27:28], v[13:14], v[8:9]
	v_fma_f64 v[4:5], v[25:26], v[13:14], v[0:1]
	v_fma_f64 v[6:7], -v[27:28], v[13:14], v[8:9]
	v_fma_f64 v[8:9], v[25:26], v[13:14], -v[0:1]
	s_delay_alu instid0(VALU_DEP_4) | instskip(NEXT) | instid1(VALU_DEP_4)
	v_fma_f64 v[0:1], -v[25:26], v[11:12], v[2:3]
	v_fma_f64 v[2:3], v[27:28], v[11:12], v[4:5]
	s_delay_alu instid0(VALU_DEP_4) | instskip(NEXT) | instid1(VALU_DEP_4)
	v_fma_f64 v[4:5], v[25:26], v[11:12], v[6:7]
	v_fma_f64 v[6:7], v[27:28], v[11:12], v[8:9]
	ds_store_b128 v210, v[0:3] offset:3808
	ds_store_b128 v10, v[4:7] offset:19040
	ds_load_b128 v[0:3], v210 offset:5712
	ds_load_b128 v[4:7], v10 offset:17136
	global_load_b128 v[11:14], v[23:24], off offset:9520
	s_wait_dscnt 0x0
	v_add_f64_e32 v[8:9], v[0:1], v[4:5]
	v_add_f64_e32 v[23:24], v[6:7], v[2:3]
	v_add_f64_e64 v[25:26], v[0:1], -v[4:5]
	v_add_f64_e64 v[0:1], v[2:3], -v[6:7]
	s_wait_loadcnt 0x2
	s_delay_alu instid0(VALU_DEP_2) | instskip(NEXT) | instid1(VALU_DEP_2)
	v_fma_f64 v[2:3], v[25:26], v[21:22], v[8:9]
	v_fma_f64 v[4:5], v[23:24], v[21:22], v[0:1]
	v_fma_f64 v[6:7], -v[25:26], v[21:22], v[8:9]
	v_fma_f64 v[8:9], v[23:24], v[21:22], -v[0:1]
	s_delay_alu instid0(VALU_DEP_4) | instskip(NEXT) | instid1(VALU_DEP_4)
	v_fma_f64 v[0:1], -v[23:24], v[19:20], v[2:3]
	v_fma_f64 v[2:3], v[25:26], v[19:20], v[4:5]
	s_delay_alu instid0(VALU_DEP_4) | instskip(NEXT) | instid1(VALU_DEP_4)
	v_fma_f64 v[4:5], v[23:24], v[19:20], v[6:7]
	v_fma_f64 v[6:7], v[25:26], v[19:20], v[8:9]
	ds_store_b128 v210, v[0:3] offset:5712
	ds_store_b128 v10, v[4:7] offset:17136
	ds_load_b128 v[0:3], v210 offset:7616
	ds_load_b128 v[4:7], v10 offset:15232
	s_wait_dscnt 0x0
	v_add_f64_e32 v[8:9], v[0:1], v[4:5]
	v_add_f64_e32 v[19:20], v[6:7], v[2:3]
	v_add_f64_e64 v[21:22], v[0:1], -v[4:5]
	v_add_f64_e64 v[0:1], v[2:3], -v[6:7]
	s_wait_loadcnt 0x1
	s_delay_alu instid0(VALU_DEP_2) | instskip(NEXT) | instid1(VALU_DEP_2)
	v_fma_f64 v[2:3], v[21:22], v[17:18], v[8:9]
	v_fma_f64 v[4:5], v[19:20], v[17:18], v[0:1]
	v_fma_f64 v[6:7], -v[21:22], v[17:18], v[8:9]
	v_fma_f64 v[8:9], v[19:20], v[17:18], -v[0:1]
	s_delay_alu instid0(VALU_DEP_4) | instskip(NEXT) | instid1(VALU_DEP_4)
	v_fma_f64 v[0:1], -v[19:20], v[15:16], v[2:3]
	v_fma_f64 v[2:3], v[21:22], v[15:16], v[4:5]
	s_delay_alu instid0(VALU_DEP_4) | instskip(NEXT) | instid1(VALU_DEP_4)
	v_fma_f64 v[4:5], v[19:20], v[15:16], v[6:7]
	v_fma_f64 v[6:7], v[21:22], v[15:16], v[8:9]
	ds_store_b128 v210, v[0:3] offset:7616
	ds_store_b128 v10, v[4:7] offset:15232
	ds_load_b128 v[0:3], v210 offset:9520
	ds_load_b128 v[4:7], v10 offset:13328
	s_wait_dscnt 0x0
	v_add_f64_e32 v[8:9], v[0:1], v[4:5]
	v_add_f64_e32 v[15:16], v[6:7], v[2:3]
	v_add_f64_e64 v[17:18], v[0:1], -v[4:5]
	v_add_f64_e64 v[0:1], v[2:3], -v[6:7]
	s_wait_loadcnt 0x0
	s_delay_alu instid0(VALU_DEP_2) | instskip(NEXT) | instid1(VALU_DEP_2)
	v_fma_f64 v[2:3], v[17:18], v[13:14], v[8:9]
	v_fma_f64 v[4:5], v[15:16], v[13:14], v[0:1]
	v_fma_f64 v[6:7], -v[17:18], v[13:14], v[8:9]
	v_fma_f64 v[8:9], v[15:16], v[13:14], -v[0:1]
	s_delay_alu instid0(VALU_DEP_4) | instskip(NEXT) | instid1(VALU_DEP_4)
	v_fma_f64 v[0:1], -v[15:16], v[11:12], v[2:3]
	v_fma_f64 v[2:3], v[17:18], v[11:12], v[4:5]
	s_delay_alu instid0(VALU_DEP_4) | instskip(NEXT) | instid1(VALU_DEP_4)
	v_fma_f64 v[4:5], v[15:16], v[11:12], v[6:7]
	v_fma_f64 v[6:7], v[17:18], v[11:12], v[8:9]
	ds_store_b128 v210, v[0:3] offset:9520
	ds_store_b128 v10, v[4:7] offset:13328
	global_wb scope:SCOPE_SE
	s_wait_dscnt 0x0
	s_barrier_signal -1
	s_barrier_wait -1
	global_inv scope:SCOPE_SE
	global_wb scope:SCOPE_SE
	s_barrier_signal -1
	s_barrier_wait -1
	global_inv scope:SCOPE_SE
	ds_load_b128 v[8:11], v210 offset:21504
	ds_load_b128 v[28:31], v210 offset:1344
	ds_load_b128 v[12:15], v210
	ds_load_b128 v[16:19], v210 offset:20160
	ds_load_b128 v[32:35], v210 offset:2688
	ds_load_b128 v[36:39], v210 offset:4032
	ds_load_b128 v[20:23], v210 offset:18816
	ds_load_b128 v[24:27], v210 offset:17472
	ds_load_b128 v[48:51], v210 offset:5376
	ds_load_b128 v[52:55], v210 offset:6720
	ds_load_b128 v[40:43], v210 offset:16128
	s_wait_dscnt 0x9
	v_add_f64_e64 v[144:145], v[30:31], -v[10:11]
	v_add_f64_e32 v[148:149], v[30:31], v[10:11]
	s_wait_dscnt 0x6
	v_add_f64_e64 v[172:173], v[34:35], -v[18:19]
	v_add_f64_e32 v[82:83], v[34:35], v[18:19]
	v_add_f64_e32 v[154:155], v[28:29], v[8:9]
	v_add_f64_e64 v[166:167], v[28:29], -v[8:9]
	s_wait_dscnt 0x4
	v_add_f64_e64 v[102:103], v[38:39], -v[22:23]
	v_add_f64_e32 v[86:87], v[38:39], v[22:23]
	v_add_f64_e32 v[88:89], v[32:33], v[16:17]
	v_add_f64_e64 v[104:105], v[32:33], -v[16:17]
	v_add_f64_e32 v[90:91], v[36:37], v[20:21]
	v_add_f64_e64 v[112:113], v[36:37], -v[20:21]
	s_wait_dscnt 0x2
	v_add_f64_e64 v[106:107], v[50:51], -v[26:27]
	v_add_f64_e32 v[92:93], v[50:51], v[26:27]
	v_add_f64_e32 v[94:95], v[48:49], v[24:25]
	v_add_f64_e64 v[120:121], v[48:49], -v[24:25]
	s_wait_dscnt 0x0
	v_add_f64_e64 v[114:115], v[54:55], -v[42:43]
	v_add_f64_e32 v[96:97], v[54:55], v[42:43]
	v_add_f64_e32 v[98:99], v[52:53], v[40:41]
	v_add_f64_e64 v[126:127], v[52:53], -v[40:41]
	v_mul_f64_e32 v[84:85], s[12:13], v[144:145]
	v_mul_f64_e32 v[170:171], s[4:5], v[148:149]
	;; [unrolled: 1-line block ×20, first 2 shown]
	v_fma_f64 v[0:1], v[154:155], s[4:5], -v[84:85]
	v_fma_f64 v[2:3], v[166:167], s[12:13], v[170:171]
	v_fma_f64 v[4:5], v[154:155], s[10:11], -v[206:207]
	v_fma_f64 v[6:7], v[166:167], s[14:15], v[208:209]
	;; [unrolled: 2-line block ×10, first 2 shown]
	v_add_f64_e32 v[0:1], v[12:13], v[0:1]
	v_add_f64_e32 v[2:3], v[14:15], v[2:3]
	;; [unrolled: 1-line block ×4, first 2 shown]
	s_delay_alu instid0(VALU_DEP_4) | instskip(NEXT) | instid1(VALU_DEP_4)
	v_add_f64_e32 v[0:1], v[44:45], v[0:1]
	v_add_f64_e32 v[2:3], v[46:47], v[2:3]
	s_delay_alu instid0(VALU_DEP_4) | instskip(NEXT) | instid1(VALU_DEP_4)
	v_add_f64_e32 v[4:5], v[56:57], v[4:5]
	v_add_f64_e32 v[6:7], v[58:59], v[6:7]
	ds_load_b128 v[44:47], v210 offset:14784
	ds_load_b128 v[64:67], v210 offset:8064
	;; [unrolled: 1-line block ×4, first 2 shown]
	s_wait_dscnt 0x2
	v_add_f64_e64 v[122:123], v[66:67], -v[46:47]
	v_add_f64_e32 v[100:101], v[66:67], v[46:47]
	v_add_f64_e32 v[108:109], v[64:65], v[44:45]
	v_add_f64_e64 v[130:131], v[64:65], -v[44:45]
	s_wait_dscnt 0x0
	v_add_f64_e64 v[128:129], v[62:63], -v[58:59]
	v_add_f64_e32 v[110:111], v[62:63], v[58:59]
	v_add_f64_e64 v[134:135], v[60:61], -v[56:57]
	v_add_f64_e32 v[0:1], v[68:69], v[0:1]
	v_add_f64_e32 v[2:3], v[70:71], v[2:3]
	;; [unrolled: 1-line block ×4, first 2 shown]
	ds_load_b128 v[72:75], v210 offset:10752
	ds_load_b128 v[68:71], v210 offset:12096
	global_wb scope:SCOPE_SE
	s_wait_dscnt 0x0
	s_barrier_signal -1
	s_barrier_wait -1
	global_inv scope:SCOPE_SE
	v_mul_f64_e32 v[192:193], s[48:49], v[122:123]
	v_mul_f64_e32 v[146:147], s[18:19], v[100:101]
	v_mul_f64_e32 v[178:179], s[46:47], v[122:123]
	v_mul_f64_e32 v[184:185], s[4:5], v[100:101]
	v_mul_f64_e32 v[142:143], s[44:45], v[128:129]
	v_mul_f64_e32 v[152:153], s[36:37], v[110:111]
	v_mul_f64_e32 v[182:183], s[42:43], v[128:129]
	v_mul_f64_e32 v[194:195], s[24:25], v[110:111]
	v_add_f64_e32 v[0:1], v[116:117], v[0:1]
	v_add_f64_e32 v[2:3], v[118:119], v[2:3]
	;; [unrolled: 1-line block ×5, first 2 shown]
	v_add_f64_e64 v[132:133], v[74:75], -v[70:71]
	v_add_f64_e32 v[118:119], v[74:75], v[70:71]
	v_add_f64_e32 v[124:125], v[72:73], v[68:69]
	v_fma_f64 v[211:212], v[108:109], s[18:19], -v[192:193]
	v_fma_f64 v[213:214], v[130:131], s[48:49], v[146:147]
	v_fma_f64 v[215:216], v[108:109], s[4:5], -v[178:179]
	v_fma_f64 v[217:218], v[130:131], s[46:47], v[184:185]
	v_fma_f64 v[221:222], v[134:135], s[44:45], v[152:153]
	;; [unrolled: 1-line block ×3, first 2 shown]
	v_add_f64_e32 v[0:1], v[136:137], v[0:1]
	v_add_f64_e32 v[2:3], v[186:187], v[2:3]
	;; [unrolled: 1-line block ×4, first 2 shown]
	v_add_f64_e64 v[136:137], v[72:73], -v[68:69]
	v_mul_f64_e32 v[156:157], s[38:39], v[132:133]
	v_mul_f64_e32 v[158:159], s[20:21], v[118:119]
	;; [unrolled: 1-line block ×4, first 2 shown]
	v_fma_f64 v[219:220], v[116:117], s[36:37], -v[142:143]
	v_fma_f64 v[223:224], v[116:117], s[24:25], -v[182:183]
	v_add_f64_e32 v[0:1], v[211:212], v[0:1]
	v_add_f64_e32 v[2:3], v[213:214], v[2:3]
	;; [unrolled: 1-line block ×4, first 2 shown]
	v_fma_f64 v[211:212], v[124:125], s[20:21], -v[156:157]
	v_fma_f64 v[213:214], v[136:137], s[38:39], v[158:159]
	v_fma_f64 v[215:216], v[124:125], s[36:37], -v[186:187]
	v_fma_f64 v[217:218], v[136:137], s[40:41], v[190:191]
	v_add_f64_e32 v[0:1], v[219:220], v[0:1]
	v_add_f64_e32 v[2:3], v[221:222], v[2:3]
	;; [unrolled: 1-line block ×4, first 2 shown]
	s_delay_alu instid0(VALU_DEP_4) | instskip(NEXT) | instid1(VALU_DEP_4)
	v_add_f64_e32 v[4:5], v[211:212], v[0:1]
	v_add_f64_e32 v[6:7], v[213:214], v[2:3]
	s_delay_alu instid0(VALU_DEP_4) | instskip(NEXT) | instid1(VALU_DEP_4)
	v_add_f64_e32 v[0:1], v[215:216], v[219:220]
	v_add_f64_e32 v[2:3], v[217:218], v[221:222]
	v_cmpx_gt_u32_e32 0x54, v78
	s_cbranch_execz .LBB0_21
; %bb.20:
	v_add_f64_e32 v[28:29], v[12:13], v[28:29]
	v_add_f64_e32 v[30:31], v[14:15], v[30:31]
	s_mov_b32 s53, 0xbfe58eea
	s_mov_b32 s52, s38
	;; [unrolled: 1-line block ×4, first 2 shown]
	v_mul_f64_e32 v[213:214], s[46:47], v[136:137]
	v_mul_f64_e32 v[215:216], s[46:47], v[132:133]
	;; [unrolled: 1-line block ×10, first 2 shown]
	s_mov_b32 s55, 0x3fc7851a
	s_mov_b32 s54, s28
	v_mul_f64_e32 v[239:240], s[30:31], v[120:121]
	v_mul_f64_e32 v[235:236], s[54:55], v[112:113]
	;; [unrolled: 1-line block ×11, first 2 shown]
	v_add_f64_e32 v[28:29], v[28:29], v[32:33]
	v_add_f64_e32 v[30:31], v[30:31], v[34:35]
	v_mul_f64_e32 v[32:33], s[42:43], v[166:167]
	v_mul_f64_e32 v[34:35], s[52:53], v[166:167]
	s_delay_alu instid0(VALU_DEP_4) | instskip(NEXT) | instid1(VALU_DEP_4)
	v_add_f64_e32 v[28:29], v[28:29], v[36:37]
	v_add_f64_e32 v[30:31], v[30:31], v[38:39]
	s_delay_alu instid0(VALU_DEP_2) | instskip(NEXT) | instid1(VALU_DEP_2)
	v_add_f64_e32 v[28:29], v[28:29], v[48:49]
	v_add_f64_e32 v[30:31], v[30:31], v[50:51]
	v_mul_f64_e32 v[48:49], s[28:29], v[144:145]
	v_mul_f64_e32 v[50:51], s[48:49], v[144:145]
	s_delay_alu instid0(VALU_DEP_4) | instskip(NEXT) | instid1(VALU_DEP_4)
	v_add_f64_e32 v[28:29], v[28:29], v[52:53]
	v_add_f64_e32 v[30:31], v[30:31], v[54:55]
	v_mul_f64_e32 v[52:53], s[40:41], v[144:145]
	v_mul_f64_e32 v[54:55], s[50:51], v[144:145]
	s_delay_alu instid0(VALU_DEP_4) | instskip(NEXT) | instid1(VALU_DEP_4)
	v_add_f64_e32 v[28:29], v[28:29], v[64:65]
	v_add_f64_e32 v[30:31], v[30:31], v[66:67]
	s_delay_alu instid0(VALU_DEP_4)
	v_fma_f64 v[64:65], v[154:155], s[36:37], -v[52:53]
	v_fma_f64 v[52:53], v[154:155], s[36:37], v[52:53]
	v_fma_f64 v[66:67], v[154:155], s[22:23], -v[54:55]
	v_fma_f64 v[54:55], v[154:155], s[22:23], v[54:55]
	v_add_f64_e32 v[28:29], v[28:29], v[60:61]
	v_add_f64_e32 v[30:31], v[30:31], v[62:63]
	v_fma_f64 v[60:61], v[154:155], s[16:17], -v[48:49]
	v_fma_f64 v[48:49], v[154:155], s[16:17], v[48:49]
	v_fma_f64 v[62:63], v[154:155], s[18:19], -v[50:51]
	v_fma_f64 v[50:51], v[154:155], s[18:19], v[50:51]
	v_add_f64_e32 v[64:65], v[12:13], v[64:65]
	v_add_f64_e32 v[66:67], v[12:13], v[66:67]
	;; [unrolled: 1-line block ×10, first 2 shown]
	s_delay_alu instid0(VALU_DEP_2) | instskip(NEXT) | instid1(VALU_DEP_2)
	v_add_f64_e32 v[28:29], v[28:29], v[56:57]
	v_add_f64_e32 v[30:31], v[30:31], v[58:59]
	v_mul_f64_e32 v[56:57], s[42:43], v[144:145]
	v_mul_f64_e32 v[58:59], s[52:53], v[144:145]
	s_delay_alu instid0(VALU_DEP_4) | instskip(NEXT) | instid1(VALU_DEP_4)
	v_add_f64_e32 v[28:29], v[28:29], v[44:45]
	v_add_f64_e32 v[30:31], v[30:31], v[46:47]
	v_fma_f64 v[44:45], v[148:149], s[24:25], v[32:33]
	v_fma_f64 v[68:69], v[154:155], s[24:25], -v[56:57]
	v_fma_f64 v[32:33], v[148:149], s[24:25], -v[32:33]
	v_fma_f64 v[56:57], v[154:155], s[24:25], v[56:57]
	v_fma_f64 v[70:71], v[154:155], s[20:21], -v[58:59]
	v_fma_f64 v[58:59], v[154:155], s[20:21], v[58:59]
	v_fma_f64 v[46:47], v[148:149], s[20:21], v[34:35]
	v_fma_f64 v[34:35], v[148:149], s[20:21], -v[34:35]
	v_add_f64_e32 v[28:29], v[28:29], v[40:41]
	v_add_f64_e32 v[30:31], v[30:31], v[42:43]
	v_add_f64_e32 v[70:71], v[12:13], v[70:71]
	v_add_f64_e32 v[58:59], v[12:13], v[58:59]
	s_delay_alu instid0(VALU_DEP_4) | instskip(NEXT) | instid1(VALU_DEP_4)
	v_add_f64_e32 v[24:25], v[28:29], v[24:25]
	v_add_f64_e32 v[26:27], v[30:31], v[26:27]
	v_mul_f64_e32 v[28:29], s[40:41], v[166:167]
	v_mul_f64_e32 v[30:31], s[50:51], v[166:167]
	s_delay_alu instid0(VALU_DEP_4) | instskip(NEXT) | instid1(VALU_DEP_4)
	v_add_f64_e32 v[20:21], v[24:25], v[20:21]
	v_add_f64_e32 v[22:23], v[26:27], v[22:23]
	s_delay_alu instid0(VALU_DEP_4)
	v_fma_f64 v[40:41], v[148:149], s[36:37], v[28:29]
	v_mul_f64_e32 v[24:25], s[28:29], v[166:167]
	v_mul_f64_e32 v[26:27], s[48:49], v[166:167]
	v_fma_f64 v[28:29], v[148:149], s[36:37], -v[28:29]
	v_fma_f64 v[42:43], v[148:149], s[22:23], v[30:31]
	v_fma_f64 v[30:31], v[148:149], s[22:23], -v[30:31]
	v_add_f64_e32 v[16:17], v[20:21], v[16:17]
	v_add_f64_e32 v[18:19], v[22:23], v[18:19]
	v_add_f64_e32 v[144:145], v[14:15], v[40:41]
	v_add_f64_e32 v[40:41], v[12:13], v[52:53]
	v_mul_f64_e32 v[20:21], s[12:13], v[166:167]
	v_mul_f64_e32 v[22:23], s[4:5], v[154:155]
	v_fma_f64 v[36:37], v[148:149], s[16:17], v[24:25]
	v_fma_f64 v[38:39], v[148:149], s[18:19], v[26:27]
	v_fma_f64 v[26:27], v[148:149], s[18:19], -v[26:27]
	v_fma_f64 v[24:25], v[148:149], s[16:17], -v[24:25]
	v_add_f64_e32 v[8:9], v[16:17], v[8:9]
	v_mul_f64_e32 v[16:17], s[14:15], v[166:167]
	v_add_f64_e32 v[10:11], v[18:19], v[10:11]
	v_mul_f64_e32 v[18:19], s[10:11], v[154:155]
	v_add_f64_e64 v[20:21], v[170:171], -v[20:21]
	v_add_f64_e32 v[22:23], v[22:23], v[84:85]
	v_add_f64_e32 v[36:37], v[14:15], v[36:37]
	;; [unrolled: 1-line block ×9, first 2 shown]
	v_mul_f64_e32 v[170:171], s[48:49], v[134:135]
	v_mul_f64_e32 v[84:85], s[48:49], v[136:137]
	v_add_f64_e64 v[16:17], v[208:209], -v[16:17]
	v_add_f64_e32 v[18:19], v[18:19], v[206:207]
	v_add_f64_e32 v[28:29], v[14:15], v[20:21]
	;; [unrolled: 1-line block ×5, first 2 shown]
	v_mul_f64_e32 v[32:33], s[48:49], v[112:113]
	v_add_f64_e32 v[56:57], v[14:15], v[34:35]
	v_add_f64_e32 v[52:53], v[14:15], v[16:17]
	;; [unrolled: 1-line block ×4, first 2 shown]
	v_mul_f64_e32 v[18:19], s[34:35], v[172:173]
	v_fma_f64 v[34:35], v[86:87], s[18:19], v[32:33]
	scratch_store_b64 off, v[16:17], off offset:8 ; 8-byte Folded Spill
	v_add_f64_e32 v[16:17], v[12:13], v[68:69]
	v_add_f64_e32 v[68:69], v[14:15], v[46:47]
	v_fma_f64 v[14:15], v[88:89], s[24:25], -v[18:19]
	v_fma_f64 v[18:19], v[88:89], s[24:25], v[18:19]
	scratch_store_b64 off, v[16:17], off    ; 8-byte Folded Spill
	v_mul_f64_e32 v[16:17], s[34:35], v[104:105]
	v_add_f64_e32 v[14:15], v[14:15], v[60:61]
	v_add_f64_e32 v[18:19], v[18:19], v[48:49]
	v_mul_f64_e32 v[48:49], s[16:17], v[88:89]
	s_delay_alu instid0(VALU_DEP_4) | instskip(SKIP_1) | instid1(VALU_DEP_3)
	v_fma_f64 v[12:13], v[82:83], s[24:25], v[16:17]
	v_fma_f64 v[16:17], v[82:83], s[24:25], -v[16:17]
	v_add_f64_e32 v[48:49], v[48:49], v[200:201]
	s_delay_alu instid0(VALU_DEP_3) | instskip(NEXT) | instid1(VALU_DEP_3)
	v_add_f64_e32 v[12:13], v[12:13], v[36:37]
	v_add_f64_e32 v[16:17], v[16:17], v[24:25]
	v_fma_f64 v[24:25], v[86:87], s[18:19], -v[32:33]
	v_fma_f64 v[32:33], v[124:125], s[4:5], v[215:216]
	s_delay_alu instid0(VALU_DEP_4) | instskip(SKIP_1) | instid1(VALU_DEP_4)
	v_add_f64_e32 v[12:13], v[34:35], v[12:13]
	v_mul_f64_e32 v[34:35], s[48:49], v[102:103]
	v_add_f64_e32 v[16:17], v[24:25], v[16:17]
	s_delay_alu instid0(VALU_DEP_2) | instskip(SKIP_2) | instid1(VALU_DEP_3)
	v_fma_f64 v[36:37], v[90:91], s[18:19], -v[34:35]
	v_fma_f64 v[24:25], v[90:91], s[18:19], v[34:35]
	v_mul_f64_e32 v[34:35], s[34:35], v[120:121]
	v_add_f64_e32 v[14:15], v[36:37], v[14:15]
	v_mul_f64_e32 v[36:37], s[38:39], v[120:121]
	s_delay_alu instid0(VALU_DEP_4) | instskip(NEXT) | instid1(VALU_DEP_4)
	v_add_f64_e32 v[18:19], v[24:25], v[18:19]
	v_add_f64_e64 v[34:35], v[176:177], -v[34:35]
	s_delay_alu instid0(VALU_DEP_3) | instskip(SKIP_2) | instid1(VALU_DEP_3)
	v_fma_f64 v[42:43], v[92:93], s[20:21], v[36:37]
	v_fma_f64 v[24:25], v[92:93], s[20:21], -v[36:37]
	v_mul_f64_e32 v[36:37], s[30:31], v[112:113]
	v_add_f64_e32 v[12:13], v[42:43], v[12:13]
	v_mul_f64_e32 v[42:43], s[38:39], v[106:107]
	s_delay_alu instid0(VALU_DEP_4) | instskip(NEXT) | instid1(VALU_DEP_4)
	v_add_f64_e32 v[16:17], v[24:25], v[16:17]
	v_add_f64_e64 v[36:37], v[164:165], -v[36:37]
	s_wait_alu 0xfffe
	v_mul_f64_e32 v[164:165], s[0:1], v[136:137]
	s_delay_alu instid0(VALU_DEP_4) | instskip(SKIP_2) | instid1(VALU_DEP_3)
	v_fma_f64 v[44:45], v[94:95], s[20:21], -v[42:43]
	v_fma_f64 v[24:25], v[94:95], s[20:21], v[42:43]
	v_mul_f64_e32 v[42:43], s[28:29], v[104:105]
	v_add_f64_e32 v[14:15], v[44:45], v[14:15]
	v_mul_f64_e32 v[44:45], s[40:41], v[126:127]
	s_delay_alu instid0(VALU_DEP_4) | instskip(NEXT) | instid1(VALU_DEP_4)
	v_add_f64_e32 v[18:19], v[24:25], v[18:19]
	v_add_f64_e64 v[42:43], v[150:151], -v[42:43]
	v_mul_f64_e32 v[150:151], s[22:23], v[98:99]
	s_delay_alu instid0(VALU_DEP_4)
	v_fma_f64 v[46:47], v[96:97], s[36:37], v[44:45]
	v_fma_f64 v[24:25], v[96:97], s[36:37], -v[44:45]
	v_mul_f64_e32 v[44:45], s[24:25], v[94:95]
	v_add_f64_e32 v[28:29], v[42:43], v[28:29]
	v_add_f64_e32 v[42:43], v[48:49], v[154:155]
	;; [unrolled: 1-line block ×3, first 2 shown]
	v_mul_f64_e32 v[48:49], s[18:19], v[108:109]
	v_mul_f64_e32 v[154:155], s[46:47], v[114:115]
	v_add_f64_e32 v[12:13], v[46:47], v[12:13]
	v_mul_f64_e32 v[46:47], s[40:41], v[114:115]
	v_add_f64_e32 v[16:17], v[24:25], v[16:17]
	v_add_f64_e32 v[44:45], v[44:45], v[174:175]
	;; [unrolled: 1-line block ×4, first 2 shown]
	v_mul_f64_e32 v[192:193], s[14:15], v[136:137]
	v_fma_f64 v[54:55], v[98:99], s[36:37], -v[46:47]
	v_fma_f64 v[24:25], v[98:99], s[36:37], v[46:47]
	v_mul_f64_e32 v[46:47], s[10:11], v[90:91]
	v_add_f64_e32 v[28:29], v[34:35], v[28:29]
	s_delay_alu instid0(VALU_DEP_4) | instskip(SKIP_4) | instid1(VALU_DEP_4)
	v_add_f64_e32 v[14:15], v[54:55], v[14:15]
	v_mul_f64_e32 v[54:55], s[0:1], v[130:131]
	v_add_f64_e32 v[18:19], v[24:25], v[18:19]
	v_add_f64_e32 v[46:47], v[46:47], v[162:163]
	v_mul_f64_e32 v[162:163], s[28:29], v[128:129]
	v_fma_f64 v[60:61], v[100:101], s[22:23], v[54:55]
	v_fma_f64 v[24:25], v[100:101], s[22:23], -v[54:55]
	v_mul_f64_e32 v[54:55], s[40:41], v[104:105]
	v_add_f64_e32 v[36:37], v[46:47], v[42:43]
	v_mul_f64_e32 v[42:43], s[44:45], v[134:135]
	v_mul_f64_e32 v[46:47], s[26:27], v[104:105]
	v_add_f64_e32 v[12:13], v[60:61], v[12:13]
	v_mul_f64_e32 v[60:61], s[0:1], v[122:123]
	v_add_f64_e32 v[16:17], v[24:25], v[16:17]
	v_add_f64_e32 v[34:35], v[44:45], v[36:37]
	v_mul_f64_e32 v[36:37], s[36:37], v[116:117]
	v_add_f64_e64 v[42:43], v[152:153], -v[42:43]
	v_mul_f64_e32 v[44:45], s[38:39], v[112:113]
	v_add_f64_e64 v[46:47], v[140:141], -v[46:47]
	v_mul_f64_e32 v[152:153], s[46:47], v[126:127]
	v_fma_f64 v[206:207], v[108:109], s[22:23], -v[60:61]
	v_fma_f64 v[24:25], v[108:109], s[22:23], v[60:61]
	v_mul_f64_e32 v[60:61], s[40:41], v[172:173]
	v_add_f64_e32 v[36:37], v[36:37], v[142:143]
	v_add_f64_e64 v[44:45], v[198:199], -v[44:45]
	v_add_f64_e32 v[46:47], v[46:47], v[52:53]
	v_add_f64_e32 v[14:15], v[206:207], v[14:15]
	v_mul_f64_e32 v[206:207], s[14:15], v[134:135]
	v_add_f64_e32 v[18:19], v[24:25], v[18:19]
	s_delay_alu instid0(VALU_DEP_4) | instskip(NEXT) | instid1(VALU_DEP_3)
	v_add_f64_e32 v[44:45], v[44:45], v[46:47]
	v_fma_f64 v[208:209], v[110:111], s[10:11], v[206:207]
	v_fma_f64 v[24:25], v[110:111], s[10:11], -v[206:207]
	v_mul_f64_e32 v[206:207], s[52:53], v[104:105]
	s_delay_alu instid0(VALU_DEP_3) | instskip(SKIP_1) | instid1(VALU_DEP_4)
	v_add_f64_e32 v[12:13], v[208:209], v[12:13]
	v_mul_f64_e32 v[208:209], s[14:15], v[128:129]
	v_add_f64_e32 v[16:17], v[24:25], v[16:17]
	s_delay_alu instid0(VALU_DEP_2) | instskip(SKIP_2) | instid1(VALU_DEP_3)
	v_fma_f64 v[211:212], v[116:117], s[10:11], -v[208:209]
	v_fma_f64 v[24:25], v[116:117], s[10:11], v[208:209]
	v_mul_f64_e32 v[208:209], s[52:53], v[172:173]
	v_add_f64_e32 v[211:212], v[211:212], v[14:15]
	v_fma_f64 v[14:15], v[118:119], s[4:5], v[213:214]
	s_delay_alu instid0(VALU_DEP_4) | instskip(SKIP_2) | instid1(VALU_DEP_4)
	v_add_f64_e32 v[24:25], v[24:25], v[18:19]
	v_fma_f64 v[18:19], v[118:119], s[4:5], -v[213:214]
	v_mul_f64_e32 v[213:214], s[50:51], v[102:103]
	v_add_f64_e32 v[14:15], v[14:15], v[12:13]
	v_fma_f64 v[12:13], v[124:125], s[4:5], -v[215:216]
	s_delay_alu instid0(VALU_DEP_4)
	v_add_f64_e32 v[18:19], v[18:19], v[16:17]
	v_add_f64_e32 v[16:17], v[32:33], v[24:25]
	v_fma_f64 v[24:25], v[82:83], s[20:21], -v[206:207]
	v_mul_f64_e32 v[215:216], s[12:13], v[120:121]
	v_mul_f64_e32 v[32:33], s[50:51], v[126:127]
	v_add_f64_e32 v[12:13], v[12:13], v[211:212]
	v_mul_f64_e32 v[211:212], s[50:51], v[112:113]
	v_add_f64_e32 v[20:21], v[24:25], v[20:21]
	v_fma_f64 v[24:25], v[88:89], s[20:21], v[208:209]
	v_add_f64_e64 v[32:33], v[188:189], -v[32:33]
	s_delay_alu instid0(VALU_DEP_2) | instskip(SKIP_1) | instid1(VALU_DEP_3)
	v_add_f64_e32 v[22:23], v[24:25], v[22:23]
	v_fma_f64 v[24:25], v[86:87], s[22:23], -v[211:212]
	v_add_f64_e32 v[28:29], v[32:33], v[28:29]
	v_add_f64_e32 v[32:33], v[150:151], v[34:35]
	v_mul_f64_e32 v[34:35], s[38:39], v[136:137]
	v_mul_f64_e32 v[150:151], s[20:21], v[90:91]
	v_add_f64_e32 v[20:21], v[24:25], v[20:21]
	v_fma_f64 v[24:25], v[90:91], s[22:23], v[213:214]
	s_delay_alu instid0(VALU_DEP_4) | instskip(NEXT) | instid1(VALU_DEP_4)
	v_add_f64_e64 v[34:35], v[158:159], -v[34:35]
	v_add_f64_e32 v[142:143], v[150:151], v[196:197]
	v_mul_f64_e32 v[150:151], s[48:49], v[106:107]
	v_mul_f64_e32 v[158:159], s[52:53], v[122:123]
	v_add_f64_e32 v[22:23], v[24:25], v[22:23]
	v_fma_f64 v[24:25], v[92:93], s[4:5], -v[215:216]
	s_delay_alu instid0(VALU_DEP_1) | instskip(SKIP_1) | instid1(VALU_DEP_1)
	v_add_f64_e32 v[20:21], v[24:25], v[20:21]
	v_fma_f64 v[24:25], v[94:95], s[4:5], v[217:218]
	v_add_f64_e32 v[22:23], v[24:25], v[22:23]
	v_fma_f64 v[24:25], v[96:97], s[10:11], -v[219:220]
	s_delay_alu instid0(VALU_DEP_1) | instskip(SKIP_1) | instid1(VALU_DEP_1)
	v_add_f64_e32 v[20:21], v[24:25], v[20:21]
	v_fma_f64 v[24:25], v[98:99], s[10:11], v[221:222]
	;; [unrolled: 5-line block ×12, first 2 shown]
	v_add_f64_e32 v[24:25], v[24:25], v[30:31]
	v_mul_f64_e32 v[30:31], s[48:49], v[130:131]
	s_delay_alu instid0(VALU_DEP_1) | instskip(SKIP_1) | instid1(VALU_DEP_2)
	v_add_f64_e64 v[30:31], v[146:147], -v[30:31]
	v_mul_f64_e32 v[146:147], s[18:19], v[88:89]
	v_add_f64_e32 v[28:29], v[30:31], v[28:29]
	v_add_f64_e32 v[30:31], v[48:49], v[32:33]
	v_mul_f64_e32 v[32:33], s[20:21], v[124:125]
	s_delay_alu instid0(VALU_DEP_4)
	v_add_f64_e32 v[146:147], v[146:147], v[138:139]
	v_mul_f64_e32 v[48:49], s[4:5], v[108:109]
	v_add_f64_e32 v[28:29], v[42:43], v[28:29]
	v_add_f64_e32 v[36:37], v[36:37], v[30:31]
	v_add_f64_e32 v[32:33], v[32:33], v[156:157]
	v_mul_f64_e32 v[42:43], s[50:51], v[120:121]
	v_add_f64_e32 v[52:53], v[146:147], v[148:149]
	v_mul_f64_e32 v[146:147], s[22:23], v[94:95]
	v_add_f64_e32 v[48:49], v[48:49], v[178:179]
	v_mul_f64_e32 v[148:149], s[48:49], v[120:121]
	v_mul_f64_e32 v[156:157], s[52:53], v[130:131]
	v_add_f64_e32 v[30:31], v[34:35], v[28:29]
	v_mul_f64_e32 v[34:35], s[46:47], v[130:131]
	v_add_f64_e32 v[28:29], v[32:33], v[36:37]
	v_mul_f64_e32 v[36:37], s[28:29], v[126:127]
	v_add_f64_e64 v[42:43], v[227:228], -v[42:43]
	v_add_f64_e32 v[146:147], v[146:147], v[204:205]
	v_add_f64_e32 v[46:47], v[142:143], v[52:53]
	v_mul_f64_e32 v[52:53], s[16:17], v[98:99]
	v_mul_f64_e32 v[32:33], s[42:43], v[134:135]
	;; [unrolled: 1-line block ×3, first 2 shown]
	v_add_f64_e64 v[34:35], v[184:185], -v[34:35]
	v_add_f64_e64 v[36:37], v[168:169], -v[36:37]
	v_add_f64_e32 v[42:43], v[42:43], v[44:45]
	v_mul_f64_e32 v[168:169], s[0:1], v[132:133]
	v_add_f64_e32 v[44:45], v[146:147], v[46:47]
	v_add_f64_e32 v[52:53], v[52:53], v[160:161]
	v_mul_f64_e32 v[46:47], s[24:25], v[116:117]
	v_add_f64_e64 v[32:33], v[194:195], -v[32:33]
	v_mul_f64_e32 v[146:147], s[42:43], v[102:103]
	v_mul_f64_e32 v[160:161], s[28:29], v[134:135]
	;; [unrolled: 1-line block ×3, first 2 shown]
	v_add_f64_e32 v[36:37], v[36:37], v[42:43]
	v_add_f64_e32 v[42:43], v[52:53], v[44:45]
	;; [unrolled: 1-line block ×3, first 2 shown]
	v_mul_f64_e32 v[44:45], s[40:41], v[136:137]
	v_mul_f64_e32 v[52:53], s[30:31], v[172:173]
	v_add_f64_e32 v[34:35], v[34:35], v[36:37]
	v_add_f64_e32 v[36:37], v[48:49], v[42:43]
	v_mul_f64_e32 v[42:43], s[36:37], v[124:125]
	v_add_f64_e64 v[44:45], v[190:191], -v[44:45]
	v_mul_f64_e32 v[48:49], s[30:31], v[104:105]
	v_add_f64_e32 v[32:33], v[32:33], v[34:35]
	v_add_f64_e32 v[36:37], v[46:47], v[36:37]
	v_add_f64_e32 v[42:43], v[42:43], v[186:187]
	v_mul_f64_e32 v[46:47], s[0:1], v[172:173]
	s_delay_alu instid0(VALU_DEP_4) | instskip(SKIP_1) | instid1(VALU_DEP_4)
	v_add_f64_e32 v[34:35], v[44:45], v[32:33]
	v_mul_f64_e32 v[44:45], s[0:1], v[104:105]
	v_add_f64_e32 v[32:33], v[42:43], v[36:37]
	v_fma_f64 v[36:37], v[82:83], s[10:11], -v[48:49]
	v_fma_f64 v[42:43], v[88:89], s[22:23], v[46:47]
	v_fma_f64 v[46:47], v[88:89], s[22:23], -v[46:47]
	v_fma_f64 v[48:49], v[82:83], s[10:11], v[48:49]
	s_delay_alu instid0(VALU_DEP_4)
	v_add_f64_e32 v[36:37], v[36:37], v[38:39]
	v_fma_f64 v[38:39], v[88:89], s[10:11], v[52:53]
	v_add_f64_e32 v[42:43], v[42:43], v[50:51]
	v_mul_f64_e32 v[50:51], s[12:13], v[112:113]
	v_add_f64_e32 v[46:47], v[46:47], v[62:63]
	v_fma_f64 v[62:63], v[124:125], s[10:11], -v[194:195]
	v_add_f64_e32 v[48:49], v[48:49], v[144:145]
	v_add_f64_e32 v[38:39], v[38:39], v[40:41]
	v_fma_f64 v[40:41], v[86:87], s[24:25], -v[142:143]
	s_delay_alu instid0(VALU_DEP_1) | instskip(SKIP_1) | instid1(VALU_DEP_1)
	v_add_f64_e32 v[36:37], v[40:41], v[36:37]
	v_fma_f64 v[40:41], v[90:91], s[24:25], v[146:147]
	v_add_f64_e32 v[38:39], v[40:41], v[38:39]
	v_fma_f64 v[40:41], v[92:93], s[18:19], -v[148:149]
	s_delay_alu instid0(VALU_DEP_1) | instskip(SKIP_1) | instid1(VALU_DEP_1)
	v_add_f64_e32 v[36:37], v[40:41], v[36:37]
	v_fma_f64 v[40:41], v[94:95], s[18:19], v[150:151]
	;; [unrolled: 5-line block ×6, first 2 shown]
	v_add_f64_e32 v[36:37], v[36:37], v[40:41]
	v_fma_f64 v[40:41], v[82:83], s[22:23], -v[44:45]
	v_fma_f64 v[44:45], v[82:83], s[22:23], v[44:45]
	s_delay_alu instid0(VALU_DEP_2) | instskip(SKIP_1) | instid1(VALU_DEP_3)
	v_add_f64_e32 v[40:41], v[40:41], v[74:75]
	v_fma_f64 v[74:75], v[86:87], s[4:5], -v[50:51]
	v_add_f64_e32 v[44:45], v[44:45], v[72:73]
	v_fma_f64 v[50:51], v[86:87], s[4:5], v[50:51]
	s_delay_alu instid0(VALU_DEP_3) | instskip(SKIP_1) | instid1(VALU_DEP_3)
	v_add_f64_e32 v[40:41], v[74:75], v[40:41]
	v_mul_f64_e32 v[74:75], s[12:13], v[102:103]
	v_add_f64_e32 v[44:45], v[50:51], v[44:45]
	s_delay_alu instid0(VALU_DEP_2) | instskip(SKIP_1) | instid1(VALU_DEP_2)
	v_fma_f64 v[174:175], v[90:91], s[4:5], v[74:75]
	v_fma_f64 v[50:51], v[90:91], s[4:5], -v[74:75]
	v_add_f64_e32 v[42:43], v[174:175], v[42:43]
	v_mul_f64_e32 v[174:175], s[44:45], v[120:121]
	s_delay_alu instid0(VALU_DEP_3) | instskip(NEXT) | instid1(VALU_DEP_2)
	v_add_f64_e32 v[46:47], v[50:51], v[46:47]
	v_fma_f64 v[176:177], v[92:93], s[36:37], -v[174:175]
	v_fma_f64 v[50:51], v[92:93], s[36:37], v[174:175]
	s_delay_alu instid0(VALU_DEP_2) | instskip(SKIP_1) | instid1(VALU_DEP_3)
	v_add_f64_e32 v[40:41], v[176:177], v[40:41]
	v_mul_f64_e32 v[176:177], s[44:45], v[106:107]
	v_add_f64_e32 v[44:45], v[50:51], v[44:45]
	s_delay_alu instid0(VALU_DEP_2) | instskip(SKIP_1) | instid1(VALU_DEP_2)
	v_fma_f64 v[178:179], v[94:95], s[36:37], v[176:177]
	v_fma_f64 v[50:51], v[94:95], s[36:37], -v[176:177]
	v_add_f64_e32 v[42:43], v[178:179], v[42:43]
	v_mul_f64_e32 v[178:179], s[42:43], v[126:127]
	s_delay_alu instid0(VALU_DEP_3) | instskip(NEXT) | instid1(VALU_DEP_2)
	v_add_f64_e32 v[46:47], v[50:51], v[46:47]
	v_fma_f64 v[180:181], v[96:97], s[24:25], -v[178:179]
	v_fma_f64 v[50:51], v[96:97], s[24:25], v[178:179]
	s_delay_alu instid0(VALU_DEP_2) | instskip(SKIP_1) | instid1(VALU_DEP_3)
	;; [unrolled: 13-line block ×4, first 2 shown]
	v_add_f64_e32 v[40:41], v[188:189], v[40:41]
	v_mul_f64_e32 v[188:189], s[38:39], v[128:129]
	v_add_f64_e32 v[44:45], v[50:51], v[44:45]
	s_delay_alu instid0(VALU_DEP_2) | instskip(SKIP_1) | instid1(VALU_DEP_2)
	v_fma_f64 v[50:51], v[116:117], s[20:21], -v[188:189]
	v_fma_f64 v[190:191], v[116:117], s[20:21], v[188:189]
	v_add_f64_e32 v[50:51], v[50:51], v[46:47]
	v_fma_f64 v[46:47], v[118:119], s[10:11], v[192:193]
	s_delay_alu instid0(VALU_DEP_3) | instskip(SKIP_1) | instid1(VALU_DEP_3)
	v_add_f64_e32 v[190:191], v[190:191], v[42:43]
	v_fma_f64 v[42:43], v[118:119], s[10:11], -v[192:193]
	v_add_f64_e32 v[46:47], v[46:47], v[44:45]
	v_add_f64_e32 v[44:45], v[62:63], v[50:51]
	v_fma_f64 v[50:51], v[88:89], s[10:11], -v[52:53]
	v_fma_f64 v[52:53], v[86:87], s[24:25], v[142:143]
	v_fma_f64 v[62:63], v[124:125], s[22:23], -v[168:169]
	v_add_f64_e32 v[42:43], v[42:43], v[40:41]
	v_fma_f64 v[40:41], v[124:125], s[10:11], v[194:195]
	v_add_f64_e32 v[50:51], v[50:51], v[64:65]
	v_add_f64_e32 v[48:49], v[52:53], v[48:49]
	v_fma_f64 v[52:53], v[90:91], s[24:25], -v[146:147]
	s_delay_alu instid0(VALU_DEP_4) | instskip(NEXT) | instid1(VALU_DEP_2)
	v_add_f64_e32 v[40:41], v[40:41], v[190:191]
	v_add_f64_e32 v[50:51], v[52:53], v[50:51]
	v_fma_f64 v[52:53], v[92:93], s[18:19], v[148:149]
	s_delay_alu instid0(VALU_DEP_1) | instskip(SKIP_1) | instid1(VALU_DEP_1)
	v_add_f64_e32 v[48:49], v[52:53], v[48:49]
	v_fma_f64 v[52:53], v[94:95], s[18:19], -v[150:151]
	v_add_f64_e32 v[50:51], v[52:53], v[50:51]
	v_fma_f64 v[52:53], v[96:97], s[4:5], v[152:153]
	s_delay_alu instid0(VALU_DEP_1) | instskip(SKIP_1) | instid1(VALU_DEP_1)
	v_add_f64_e32 v[48:49], v[52:53], v[48:49]
	v_fma_f64 v[52:53], v[98:99], s[4:5], -v[154:155]
	;; [unrolled: 5-line block ×4, first 2 shown]
	v_add_f64_e32 v[52:53], v[52:53], v[50:51]
	v_fma_f64 v[50:51], v[118:119], s[22:23], v[164:165]
	s_delay_alu instid0(VALU_DEP_1) | instskip(NEXT) | instid1(VALU_DEP_3)
	v_add_f64_e32 v[50:51], v[50:51], v[48:49]
	v_add_f64_e32 v[48:49], v[62:63], v[52:53]
	v_fma_f64 v[52:53], v[82:83], s[36:37], v[54:55]
	v_fma_f64 v[54:55], v[88:89], s[36:37], -v[60:61]
	v_fma_f64 v[60:61], v[86:87], s[16:17], v[235:236]
	v_fma_f64 v[62:63], v[124:125], s[18:19], -v[202:203]
	s_delay_alu instid0(VALU_DEP_4) | instskip(NEXT) | instid1(VALU_DEP_4)
	v_add_f64_e32 v[52:53], v[52:53], v[166:167]
	v_add_f64_e32 v[54:55], v[54:55], v[66:67]
	s_delay_alu instid0(VALU_DEP_2) | instskip(SKIP_1) | instid1(VALU_DEP_1)
	v_add_f64_e32 v[52:53], v[60:61], v[52:53]
	v_fma_f64 v[60:61], v[90:91], s[16:17], -v[237:238]
	v_add_f64_e32 v[54:55], v[60:61], v[54:55]
	v_fma_f64 v[60:61], v[92:93], s[10:11], v[239:240]
	s_delay_alu instid0(VALU_DEP_1) | instskip(SKIP_1) | instid1(VALU_DEP_1)
	v_add_f64_e32 v[52:53], v[60:61], v[52:53]
	v_fma_f64 v[60:61], v[94:95], s[10:11], -v[241:242]
	v_add_f64_e32 v[54:55], v[60:61], v[54:55]
	v_fma_f64 v[60:61], v[96:97], s[20:21], v[243:244]
	s_delay_alu instid0(VALU_DEP_1) | instskip(SKIP_1) | instid1(VALU_DEP_1)
	v_add_f64_e32 v[52:53], v[60:61], v[52:53]
	v_fma_f64 v[60:61], v[98:99], s[20:21], -v[245:246]
	v_add_f64_e32 v[54:55], v[60:61], v[54:55]
	v_fma_f64 v[60:61], v[100:101], s[24:25], v[247:248]
	s_delay_alu instid0(VALU_DEP_1) | instskip(SKIP_1) | instid1(VALU_DEP_1)
	v_add_f64_e32 v[52:53], v[60:61], v[52:53]
	v_fma_f64 v[60:61], v[108:109], s[24:25], -v[249:250]
	v_add_f64_e32 v[54:55], v[60:61], v[54:55]
	v_fma_f64 v[60:61], v[110:111], s[4:5], v[251:252]
	s_delay_alu instid0(VALU_DEP_1) | instskip(SKIP_1) | instid1(VALU_DEP_1)
	v_add_f64_e32 v[52:53], v[60:61], v[52:53]
	v_fma_f64 v[60:61], v[116:117], s[4:5], -v[253:254]
	v_add_f64_e32 v[60:61], v[60:61], v[54:55]
	v_fma_f64 v[54:55], v[118:119], s[18:19], v[84:85]
	s_delay_alu instid0(VALU_DEP_1) | instskip(NEXT) | instid1(VALU_DEP_3)
	v_add_f64_e32 v[54:55], v[54:55], v[52:53]
	v_add_f64_e32 v[52:53], v[62:63], v[60:61]
	v_mul_f64_e32 v[60:61], s[12:13], v[104:105]
	s_delay_alu instid0(VALU_DEP_1) | instskip(SKIP_1) | instid1(VALU_DEP_2)
	v_fma_f64 v[62:63], v[82:83], s[4:5], -v[60:61]
	v_fma_f64 v[60:61], v[82:83], s[4:5], v[60:61]
	v_add_f64_e32 v[56:57], v[62:63], v[56:57]
	v_mul_f64_e32 v[62:63], s[12:13], v[172:173]
	s_delay_alu instid0(VALU_DEP_3) | instskip(SKIP_3) | instid1(VALU_DEP_2)
	v_add_f64_e32 v[60:61], v[60:61], v[68:69]
	scratch_load_b64 v[68:69], off, off offset:8 th:TH_LOAD_LU ; 8-byte Folded Reload
	v_fma_f64 v[64:65], v[88:89], s[4:5], v[62:63]
	v_fma_f64 v[62:63], v[88:89], s[4:5], -v[62:63]
	v_add_f64_e32 v[58:59], v[64:65], v[58:59]
	v_mul_f64_e32 v[64:65], s[40:41], v[112:113]
	s_delay_alu instid0(VALU_DEP_3) | instskip(SKIP_1) | instid1(VALU_DEP_3)
	v_add_f64_e32 v[62:63], v[62:63], v[70:71]
	v_fma_f64 v[70:71], v[86:87], s[22:23], v[211:212]
	v_fma_f64 v[66:67], v[86:87], s[36:37], -v[64:65]
	v_fma_f64 v[64:65], v[86:87], s[36:37], v[64:65]
	s_delay_alu instid0(VALU_DEP_2) | instskip(SKIP_1) | instid1(VALU_DEP_3)
	v_add_f64_e32 v[56:57], v[66:67], v[56:57]
	v_mul_f64_e32 v[66:67], s[40:41], v[102:103]
	v_add_f64_e32 v[60:61], v[64:65], v[60:61]
	s_delay_alu instid0(VALU_DEP_2) | instskip(SKIP_1) | instid1(VALU_DEP_2)
	v_fma_f64 v[72:73], v[90:91], s[36:37], v[66:67]
	v_fma_f64 v[64:65], v[90:91], s[36:37], -v[66:67]
	v_add_f64_e32 v[58:59], v[72:73], v[58:59]
	v_mul_f64_e32 v[72:73], s[28:29], v[120:121]
	s_delay_alu instid0(VALU_DEP_3) | instskip(NEXT) | instid1(VALU_DEP_2)
	v_add_f64_e32 v[62:63], v[64:65], v[62:63]
	v_fma_f64 v[74:75], v[92:93], s[16:17], -v[72:73]
	v_fma_f64 v[64:65], v[92:93], s[16:17], v[72:73]
	v_fma_f64 v[72:73], v[90:91], s[22:23], -v[213:214]
	s_delay_alu instid0(VALU_DEP_3) | instskip(SKIP_1) | instid1(VALU_DEP_4)
	v_add_f64_e32 v[56:57], v[74:75], v[56:57]
	v_mul_f64_e32 v[74:75], s[28:29], v[106:107]
	v_add_f64_e32 v[60:61], v[64:65], v[60:61]
	s_delay_alu instid0(VALU_DEP_2) | instskip(SKIP_1) | instid1(VALU_DEP_2)
	v_fma_f64 v[84:85], v[94:95], s[16:17], v[74:75]
	v_fma_f64 v[64:65], v[94:95], s[16:17], -v[74:75]
	v_add_f64_e32 v[58:59], v[84:85], v[58:59]
	v_mul_f64_e32 v[84:85], s[26:27], v[126:127]
	s_delay_alu instid0(VALU_DEP_3) | instskip(SKIP_1) | instid1(VALU_DEP_3)
	v_add_f64_e32 v[62:63], v[64:65], v[62:63]
	v_mul_f64_e32 v[126:127], s[34:35], v[132:133]
	v_fma_f64 v[102:103], v[96:97], s[18:19], -v[84:85]
	v_fma_f64 v[64:65], v[96:97], s[18:19], v[84:85]
	s_delay_alu instid0(VALU_DEP_3) | instskip(NEXT) | instid1(VALU_DEP_3)
	v_fma_f64 v[66:67], v[124:125], s[24:25], -v[126:127]
	v_add_f64_e32 v[56:57], v[102:103], v[56:57]
	v_mul_f64_e32 v[102:103], s[26:27], v[114:115]
	s_delay_alu instid0(VALU_DEP_4) | instskip(NEXT) | instid1(VALU_DEP_2)
	v_add_f64_e32 v[60:61], v[64:65], v[60:61]
	v_fma_f64 v[104:105], v[98:99], s[18:19], v[102:103]
	v_fma_f64 v[64:65], v[98:99], s[18:19], -v[102:103]
	s_delay_alu instid0(VALU_DEP_2) | instskip(SKIP_1) | instid1(VALU_DEP_3)
	v_add_f64_e32 v[58:59], v[104:105], v[58:59]
	v_mul_f64_e32 v[104:105], s[30:31], v[130:131]
	v_add_f64_e32 v[62:63], v[64:65], v[62:63]
	s_delay_alu instid0(VALU_DEP_2) | instskip(SKIP_1) | instid1(VALU_DEP_2)
	v_fma_f64 v[106:107], v[100:101], s[10:11], -v[104:105]
	v_fma_f64 v[64:65], v[100:101], s[10:11], v[104:105]
	v_add_f64_e32 v[56:57], v[106:107], v[56:57]
	v_mul_f64_e32 v[106:107], s[30:31], v[122:123]
	s_delay_alu instid0(VALU_DEP_3) | instskip(SKIP_1) | instid1(VALU_DEP_3)
	v_add_f64_e32 v[60:61], v[64:65], v[60:61]
	v_mul_f64_e32 v[122:123], s[34:35], v[136:137]
	v_fma_f64 v[112:113], v[108:109], s[10:11], v[106:107]
	v_fma_f64 v[64:65], v[108:109], s[10:11], -v[106:107]
	s_delay_alu instid0(VALU_DEP_2) | instskip(SKIP_1) | instid1(VALU_DEP_3)
	v_add_f64_e32 v[58:59], v[112:113], v[58:59]
	v_mul_f64_e32 v[112:113], s[0:1], v[134:135]
	v_add_f64_e32 v[62:63], v[64:65], v[62:63]
	s_delay_alu instid0(VALU_DEP_2) | instskip(SKIP_1) | instid1(VALU_DEP_2)
	v_fma_f64 v[114:115], v[110:111], s[22:23], -v[112:113]
	v_fma_f64 v[64:65], v[110:111], s[22:23], v[112:113]
	v_add_f64_e32 v[56:57], v[114:115], v[56:57]
	v_mul_f64_e32 v[114:115], s[0:1], v[128:129]
	s_delay_alu instid0(VALU_DEP_3) | instskip(NEXT) | instid1(VALU_DEP_2)
	v_add_f64_e32 v[60:61], v[64:65], v[60:61]
	v_fma_f64 v[64:65], v[116:117], s[22:23], -v[114:115]
	v_fma_f64 v[120:121], v[116:117], s[22:23], v[114:115]
	s_delay_alu instid0(VALU_DEP_2) | instskip(SKIP_1) | instid1(VALU_DEP_3)
	v_add_f64_e32 v[64:65], v[64:65], v[62:63]
	v_fma_f64 v[62:63], v[118:119], s[24:25], v[122:123]
	v_add_f64_e32 v[120:121], v[120:121], v[58:59]
	v_fma_f64 v[58:59], v[118:119], s[24:25], -v[122:123]
	s_delay_alu instid0(VALU_DEP_3)
	v_add_f64_e32 v[62:63], v[62:63], v[60:61]
	v_add_f64_e32 v[60:61], v[66:67], v[64:65]
	v_fma_f64 v[64:65], v[82:83], s[20:21], v[206:207]
	v_fma_f64 v[66:67], v[88:89], s[20:21], -v[208:209]
	v_add_f64_e32 v[58:59], v[58:59], v[56:57]
	v_fma_f64 v[56:57], v[124:125], s[24:25], v[126:127]
	s_wait_loadcnt 0x0
	s_delay_alu instid0(VALU_DEP_4)
	v_add_f64_e32 v[64:65], v[64:65], v[68:69]
	scratch_load_b64 v[68:69], off, off th:TH_LOAD_LU ; 8-byte Folded Reload
	v_add_f64_e32 v[56:57], v[56:57], v[120:121]
	v_add_f64_e32 v[64:65], v[70:71], v[64:65]
	v_fma_f64 v[70:71], v[94:95], s[4:5], -v[217:218]
	s_wait_loadcnt 0x0
	v_add_f64_e32 v[66:67], v[66:67], v[68:69]
	v_fma_f64 v[68:69], v[92:93], s[4:5], v[215:216]
	s_delay_alu instid0(VALU_DEP_2) | instskip(SKIP_1) | instid1(VALU_DEP_3)
	v_add_f64_e32 v[66:67], v[72:73], v[66:67]
	v_fma_f64 v[72:73], v[96:97], s[10:11], v[219:220]
	v_add_f64_e32 v[64:65], v[68:69], v[64:65]
	v_fma_f64 v[68:69], v[98:99], s[10:11], -v[221:222]
	s_delay_alu instid0(VALU_DEP_4) | instskip(SKIP_1) | instid1(VALU_DEP_4)
	v_add_f64_e32 v[66:67], v[70:71], v[66:67]
	v_fma_f64 v[70:71], v[100:101], s[36:37], v[223:224]
	v_add_f64_e32 v[64:65], v[72:73], v[64:65]
	v_fma_f64 v[72:73], v[108:109], s[36:37], -v[225:226]
	s_delay_alu instid0(VALU_DEP_4) | instskip(SKIP_1) | instid1(VALU_DEP_4)
	;; [unrolled: 5-line block ×3, first 2 shown]
	v_add_f64_e32 v[66:67], v[72:73], v[66:67]
	v_fma_f64 v[72:73], v[118:119], s[16:17], v[231:232]
	v_add_f64_e32 v[64:65], v[68:69], v[64:65]
	v_fma_f64 v[68:69], v[124:125], s[16:17], -v[233:234]
	s_delay_alu instid0(VALU_DEP_4) | instskip(NEXT) | instid1(VALU_DEP_3)
	v_add_f64_e32 v[70:71], v[70:71], v[66:67]
	v_add_f64_e32 v[66:67], v[72:73], v[64:65]
	s_delay_alu instid0(VALU_DEP_2)
	v_add_f64_e32 v[64:65], v[68:69], v[70:71]
	v_lshl_add_u32 v68, v78, 8, v210
	ds_store_b128 v68, v[8:11]
	ds_store_b128 v68, v[20:23] offset:16
	ds_store_b128 v68, v[56:59] offset:32
	ds_store_b128 v68, v[24:27] offset:48
	ds_store_b128 v68, v[28:31] offset:64
	ds_store_b128 v68, v[32:35] offset:80
	ds_store_b128 v68, v[36:39] offset:96
	ds_store_b128 v68, v[40:43] offset:112
	ds_store_b128 v68, v[16:19] offset:128
	ds_store_b128 v68, v[12:15] offset:144
	ds_store_b128 v68, v[44:47] offset:160
	ds_store_b128 v68, v[48:51] offset:176
	ds_store_b128 v68, v[52:55] offset:224
	ds_store_b128 v68, v[60:63] offset:240
	ds_store_b128 v68, v[64:67] offset:256
	ds_store_b128 v68, v[0:3] offset:192
	ds_store_b128 v68, v[4:7] offset:208
.LBB0_21:
	s_or_b32 exec_lo, exec_lo, s33
	v_and_b32_e32 v8, 0xff, v78
	v_add_nc_u16 v56, v78, 0x77
	v_add_nc_u32_e32 v9, 0xee, v78
	v_add_nc_u32_e32 v10, 0x165, v78
	;; [unrolled: 1-line block ×3, first 2 shown]
	v_mul_lo_u16 v58, 0xf1, v8
	v_and_b32_e32 v8, 0xff, v56
	v_and_b32_e32 v13, 0xffff, v9
	v_add_nc_u32_e32 v12, 0x253, v78
	v_and_b32_e32 v14, 0xffff, v10
	v_lshrrev_b16 v71, 12, v58
	v_mul_lo_u16 v57, 0xf1, v8
	v_and_b32_e32 v16, 0xffff, v11
	v_mul_u32_u24_e32 v8, 0xf0f1, v13
	v_and_b32_e32 v17, 0xffff, v12
	v_mul_lo_u16 v15, v71, 17
	v_mul_u32_u24_e32 v14, 0xf0f1, v14
	v_lshrrev_b16 v72, 12, v57
	v_lshrrev_b32_e32 v73, 20, v8
	global_wb scope:SCOPE_SE
	s_wait_storecnt_dscnt 0x0
	v_sub_nc_u16 v13, v78, v15
	v_mul_u32_u24_e32 v15, 0xf0f1, v16
	v_lshrrev_b32_e32 v74, 20, v14
	v_mul_lo_u16 v14, v72, 17
	v_mul_lo_u16 v16, v73, 17
	v_and_b32_e32 v8, 0xff, v13
	v_mul_u32_u24_e32 v13, 0xf0f1, v17
	v_lshrrev_b32_e32 v79, 20, v15
	s_barrier_signal -1
	v_sub_nc_u16 v9, v9, v16
	v_lshlrev_b32_e32 v75, 4, v8
	v_lshrrev_b32_e32 v82, 20, v13
	v_sub_nc_u16 v8, v56, v14
	v_mul_lo_u16 v13, v74, 17
	v_mul_lo_u16 v14, v79, 17
	v_and_b32_e32 v9, 0xffff, v9
	v_mul_lo_u16 v15, v82, 17
	v_and_b32_e32 v8, 0xff, v8
	v_sub_nc_u16 v10, v10, v13
	v_sub_nc_u16 v11, v11, v14
	v_lshlrev_b32_e32 v84, 4, v9
	v_sub_nc_u16 v12, v12, v15
	v_lshlrev_b32_e32 v83, 4, v8
	v_and_b32_e32 v13, 0xffff, v10
	v_and_b32_e32 v16, 0xffff, v11
	s_barrier_wait -1
	global_inv scope:SCOPE_SE
	v_and_b32_e32 v20, 0xffff, v12
	global_load_b128 v[8:11], v75, s[8:9]
	v_lshlrev_b32_e32 v85, 4, v13
	global_load_b128 v[12:15], v83, s[8:9]
	v_lshlrev_b32_e32 v86, 4, v16
	global_load_b128 v[16:19], v84, s[8:9]
	v_lshlrev_b32_e32 v87, 4, v20
	s_clause 0x2
	global_load_b128 v[20:23], v85, s[8:9]
	global_load_b128 v[24:27], v86, s[8:9]
	;; [unrolled: 1-line block ×3, first 2 shown]
	ds_load_b128 v[32:35], v210 offset:11424
	ds_load_b128 v[36:39], v210 offset:13328
	;; [unrolled: 1-line block ×6, first 2 shown]
	v_cmp_gt_u32_e64 s0, 0x55, v78
	s_wait_loadcnt_dscnt 0x505
	v_mul_f64_e32 v[59:60], v[34:35], v[10:11]
	v_mul_f64_e32 v[10:11], v[32:33], v[10:11]
	s_wait_loadcnt_dscnt 0x404
	v_mul_f64_e32 v[61:62], v[38:39], v[14:15]
	v_mul_f64_e32 v[14:15], v[36:37], v[14:15]
	;; [unrolled: 3-line block ×6, first 2 shown]
	v_fma_f64 v[59:60], v[32:33], v[8:9], v[59:60]
	v_fma_f64 v[8:9], v[34:35], v[8:9], -v[10:11]
	v_fma_f64 v[10:11], v[36:37], v[12:13], v[61:62]
	v_fma_f64 v[12:13], v[38:39], v[12:13], -v[14:15]
	;; [unrolled: 2-line block ×6, first 2 shown]
	ds_load_b128 v[16:19], v210
	ds_load_b128 v[24:27], v210 offset:1904
	ds_load_b128 v[28:31], v210 offset:3808
	;; [unrolled: 1-line block ×5, first 2 shown]
	global_wb scope:SCOPE_SE
	s_wait_dscnt 0x0
	s_barrier_signal -1
	s_barrier_wait -1
	global_inv scope:SCOPE_SE
	v_add_f64_e64 v[44:45], v[16:17], -v[59:60]
	v_add_f64_e64 v[46:47], v[18:19], -v[8:9]
	;; [unrolled: 1-line block ×12, first 2 shown]
	v_fma_f64 v[59:60], v[16:17], 2.0, -v[44:45]
	v_fma_f64 v[61:62], v[18:19], 2.0, -v[46:47]
	;; [unrolled: 1-line block ×12, first 2 shown]
	v_and_b32_e32 v36, 0xffff, v71
	v_and_b32_e32 v37, 0xffff, v72
	v_mul_u32_u24_e32 v38, 0x220, v73
	v_mul_u32_u24_e32 v39, 0x220, v74
	;; [unrolled: 1-line block ×6, first 2 shown]
	v_add3_u32 v38, 0, v38, v84
	v_add3_u32 v39, 0, v39, v85
	v_add3_u32 v36, 0, v36, v75
	v_add3_u32 v37, 0, v37, v83
	v_add3_u32 v40, 0, v40, v86
	v_add3_u32 v41, 0, v41, v87
	ds_store_b128 v36, v[59:62]
	ds_store_b128 v36, v[44:47] offset:272
	ds_store_b128 v37, v[63:66]
	ds_store_b128 v37, v[48:51] offset:272
	;; [unrolled: 2-line block ×6, first 2 shown]
	global_wb scope:SCOPE_SE
	s_wait_dscnt 0x0
	s_barrier_signal -1
	s_barrier_wait -1
	global_inv scope:SCOPE_SE
	ds_load_b128 v[28:31], v210
	ds_load_b128 v[48:51], v210 offset:3264
	ds_load_b128 v[44:47], v210 offset:6528
	;; [unrolled: 1-line block ×6, first 2 shown]
	s_and_saveexec_b32 s1, s0
	s_cbranch_execz .LBB0_23
; %bb.22:
	ds_load_b128 v[8:11], v210 offset:1904
	ds_load_b128 v[16:19], v210 offset:5168
	;; [unrolled: 1-line block ×7, first 2 shown]
.LBB0_23:
	s_wait_alu 0xfffe
	s_or_b32 exec_lo, exec_lo, s1
	v_lshrrev_b16 v79, 13, v58
	s_mov_b32 s10, 0x37e14327
	s_mov_b32 s12, 0xe976ee23
	;; [unrolled: 1-line block ×4, first 2 shown]
	v_mul_lo_u16 v58, v79, 34
	s_mov_b32 s4, 0x429ad128
	s_mov_b32 s5, 0xbfebfeb5
	;; [unrolled: 1-line block ×4, first 2 shown]
	v_sub_nc_u16 v58, v78, v58
	s_mov_b32 s14, 0xaaaaaaaa
	s_mov_b32 s22, 0xb247c609
	;; [unrolled: 1-line block ×4, first 2 shown]
	v_and_b32_e32 v100, 0xff, v58
	s_mov_b32 s23, 0xbfd5d0dc
	s_mov_b32 s17, 0x3fe77f67
	;; [unrolled: 1-line block ×4, first 2 shown]
	v_mul_u32_u24_e32 v58, 6, v100
	s_wait_alu 0xfffe
	s_mov_b32 s20, s16
	s_mov_b32 s24, s22
	;; [unrolled: 1-line block ×4, first 2 shown]
	v_lshlrev_b32_e32 v74, 4, v58
	s_clause 0x5
	global_load_b128 v[58:61], v74, s[8:9] offset:272
	global_load_b128 v[62:65], v74, s[8:9] offset:288
	;; [unrolled: 1-line block ×6, first 2 shown]
	global_wb scope:SCOPE_SE
	s_wait_loadcnt_dscnt 0x0
	s_barrier_signal -1
	s_barrier_wait -1
	global_inv scope:SCOPE_SE
	v_mul_f64_e32 v[74:75], v[50:51], v[60:61]
	v_mul_f64_e32 v[60:61], v[48:49], v[60:61]
	;; [unrolled: 1-line block ×12, first 2 shown]
	v_fma_f64 v[48:49], v[48:49], v[58:59], v[74:75]
	v_fma_f64 v[50:51], v[50:51], v[58:59], -v[60:61]
	v_fma_f64 v[44:45], v[44:45], v[62:63], v[90:91]
	v_fma_f64 v[46:47], v[46:47], v[62:63], -v[64:65]
	;; [unrolled: 2-line block ×6, first 2 shown]
	v_add_f64_e32 v[58:59], v[48:49], v[52:53]
	v_add_f64_e32 v[60:61], v[50:51], v[54:55]
	;; [unrolled: 1-line block ×4, first 2 shown]
	v_add_f64_e64 v[40:41], v[44:45], -v[40:41]
	v_add_f64_e64 v[42:43], v[46:47], -v[42:43]
	v_add_f64_e32 v[44:45], v[36:37], v[32:33]
	v_add_f64_e32 v[46:47], v[38:39], v[34:35]
	v_add_f64_e64 v[32:33], v[32:33], -v[36:37]
	v_add_f64_e64 v[34:35], v[34:35], -v[38:39]
	v_add_f64_e64 v[36:37], v[48:49], -v[52:53]
	v_add_f64_e64 v[38:39], v[50:51], -v[54:55]
	v_add_f64_e32 v[48:49], v[62:63], v[58:59]
	v_add_f64_e32 v[50:51], v[64:65], v[60:61]
	v_add_f64_e64 v[52:53], v[58:59], -v[44:45]
	v_add_f64_e64 v[54:55], v[60:61], -v[46:47]
	;; [unrolled: 1-line block ×6, first 2 shown]
	v_add_f64_e32 v[40:41], v[32:33], v[40:41]
	v_add_f64_e32 v[42:43], v[34:35], v[42:43]
	v_add_f64_e64 v[32:33], v[36:37], -v[32:33]
	v_add_f64_e64 v[34:35], v[38:39], -v[34:35]
	;; [unrolled: 1-line block ×4, first 2 shown]
	v_add_f64_e32 v[48:49], v[44:45], v[48:49]
	v_add_f64_e32 v[50:51], v[46:47], v[50:51]
	v_add_f64_e64 v[44:45], v[44:45], -v[62:63]
	v_add_f64_e64 v[46:47], v[46:47], -v[64:65]
	v_mul_f64_e32 v[52:53], s[10:11], v[52:53]
	v_mul_f64_e32 v[54:55], s[10:11], v[54:55]
	;; [unrolled: 1-line block ×6, first 2 shown]
	v_add_f64_e32 v[36:37], v[40:41], v[36:37]
	v_add_f64_e32 v[38:39], v[42:43], v[38:39]
	;; [unrolled: 1-line block ×4, first 2 shown]
	v_mul_f64_e32 v[62:63], s[18:19], v[44:45]
	v_mul_f64_e32 v[64:65], s[18:19], v[46:47]
	v_fma_f64 v[40:41], v[44:45], s[18:19], v[52:53]
	v_fma_f64 v[42:43], v[46:47], s[18:19], v[54:55]
	;; [unrolled: 1-line block ×4, first 2 shown]
	v_fma_f64 v[66:67], v[70:71], s[4:5], -v[66:67]
	v_fma_f64 v[68:69], v[72:73], s[4:5], -v[68:69]
	s_wait_alu 0xfffe
	v_fma_f64 v[32:33], v[32:33], s[24:25], -v[74:75]
	v_fma_f64 v[34:35], v[34:35], s[24:25], -v[82:83]
	;; [unrolled: 1-line block ×4, first 2 shown]
	v_fma_f64 v[48:49], v[48:49], s[14:15], v[28:29]
	v_fma_f64 v[50:51], v[50:51], s[14:15], v[30:31]
	v_fma_f64 v[58:59], v[58:59], s[16:17], -v[62:63]
	v_fma_f64 v[60:61], v[60:61], s[16:17], -v[64:65]
	v_fma_f64 v[62:63], v[36:37], s[26:27], v[44:45]
	v_fma_f64 v[64:65], v[38:39], s[26:27], v[46:47]
	v_fma_f64 v[46:47], v[36:37], s[26:27], v[66:67]
	v_fma_f64 v[44:45], v[38:39], s[26:27], v[68:69]
	v_fma_f64 v[66:67], v[36:37], s[26:27], v[32:33]
	v_fma_f64 v[68:69], v[38:39], s[26:27], v[34:35]
	v_add_f64_e32 v[70:71], v[40:41], v[48:49]
	v_add_f64_e32 v[72:73], v[42:43], v[50:51]
	;; [unrolled: 1-line block ×6, first 2 shown]
	v_and_b32_e32 v58, 0xffff, v79
	v_lshlrev_b32_e32 v59, 4, v100
	s_delay_alu instid0(VALU_DEP_2) | instskip(NEXT) | instid1(VALU_DEP_1)
	v_mul_u32_u24_e32 v58, 0xee0, v58
	v_add3_u32 v58, 0, v58, v59
	v_add_f64_e32 v[32:33], v[64:65], v[70:71]
	v_add_f64_e64 v[34:35], v[72:73], -v[62:63]
	v_add_f64_e32 v[36:37], v[68:69], v[52:53]
	v_add_f64_e64 v[38:39], v[54:55], -v[66:67]
	v_add_f64_e64 v[40:41], v[48:49], -v[44:45]
	v_add_f64_e32 v[42:43], v[46:47], v[50:51]
	v_add_f64_e32 v[44:45], v[44:45], v[48:49]
	v_add_f64_e64 v[46:47], v[50:51], -v[46:47]
	v_add_f64_e64 v[48:49], v[52:53], -v[68:69]
	v_add_f64_e32 v[50:51], v[66:67], v[54:55]
	v_add_f64_e64 v[52:53], v[70:71], -v[64:65]
	v_add_f64_e32 v[54:55], v[62:63], v[72:73]
	ds_store_b128 v58, v[28:31]
	ds_store_b128 v58, v[32:35] offset:544
	ds_store_b128 v58, v[36:39] offset:1088
	;; [unrolled: 1-line block ×6, first 2 shown]
	s_and_saveexec_b32 s1, s0
	s_cbranch_execz .LBB0_25
; %bb.24:
	v_lshrrev_b16 v64, 13, v57
	s_delay_alu instid0(VALU_DEP_1) | instskip(NEXT) | instid1(VALU_DEP_1)
	v_mul_lo_u16 v28, v64, 34
	v_sub_nc_u16 v28, v56, v28
	s_delay_alu instid0(VALU_DEP_1) | instskip(NEXT) | instid1(VALU_DEP_1)
	v_and_b32_e32 v65, 0xff, v28
	v_mul_u32_u24_e32 v28, 6, v65
	s_delay_alu instid0(VALU_DEP_1)
	v_lshlrev_b32_e32 v48, 4, v28
	s_clause 0x5
	global_load_b128 v[28:31], v48, s[8:9] offset:288
	global_load_b128 v[32:35], v48, s[8:9] offset:336
	global_load_b128 v[36:39], v48, s[8:9] offset:272
	global_load_b128 v[40:43], v48, s[8:9] offset:352
	global_load_b128 v[44:47], v48, s[8:9] offset:320
	global_load_b128 v[48:51], v48, s[8:9] offset:304
	s_wait_loadcnt 0x5
	v_mul_f64_e32 v[52:53], v[12:13], v[30:31]
	s_wait_loadcnt 0x4
	v_mul_f64_e32 v[54:55], v[0:1], v[34:35]
	;; [unrolled: 2-line block ×4, first 2 shown]
	v_mul_f64_e32 v[30:31], v[14:15], v[30:31]
	v_mul_f64_e32 v[34:35], v[2:3], v[34:35]
	;; [unrolled: 1-line block ×4, first 2 shown]
	s_wait_loadcnt 0x1
	v_mul_f64_e32 v[60:61], v[22:23], v[46:47]
	s_wait_loadcnt 0x0
	v_mul_f64_e32 v[62:63], v[26:27], v[50:51]
	v_mul_f64_e32 v[50:51], v[24:25], v[50:51]
	;; [unrolled: 1-line block ×3, first 2 shown]
	v_fma_f64 v[14:15], v[14:15], v[28:29], -v[52:53]
	v_fma_f64 v[2:3], v[2:3], v[32:33], -v[54:55]
	;; [unrolled: 1-line block ×4, first 2 shown]
	v_fma_f64 v[12:13], v[12:13], v[28:29], v[30:31]
	v_fma_f64 v[0:1], v[0:1], v[32:33], v[34:35]
	;; [unrolled: 1-line block ×6, first 2 shown]
	v_fma_f64 v[26:27], v[26:27], v[48:49], -v[50:51]
	v_fma_f64 v[22:23], v[22:23], v[44:45], -v[46:47]
	v_add_f64_e32 v[28:29], v[14:15], v[2:3]
	v_add_f64_e64 v[2:3], v[14:15], -v[2:3]
	v_add_f64_e32 v[30:31], v[18:19], v[6:7]
	v_add_f64_e64 v[6:7], v[18:19], -v[6:7]
	;; [unrolled: 2-line block ×4, first 2 shown]
	v_add_f64_e64 v[36:37], v[20:21], -v[24:25]
	v_add_f64_e32 v[20:21], v[24:25], v[20:21]
	v_add_f64_e32 v[12:13], v[26:27], v[22:23]
	v_add_f64_e64 v[22:23], v[22:23], -v[26:27]
	v_add_f64_e32 v[16:17], v[28:29], v[30:31]
	v_add_f64_e64 v[42:43], v[2:3], -v[6:7]
	;; [unrolled: 2-line block ×3, first 2 shown]
	v_add_f64_e64 v[18:19], v[36:37], -v[0:1]
	v_add_f64_e64 v[26:27], v[34:35], -v[20:21]
	v_add_f64_e64 v[24:25], v[30:31], -v[12:13]
	v_add_f64_e64 v[40:41], v[22:23], -v[2:3]
	v_add_f64_e32 v[44:45], v[36:37], v[0:1]
	v_add_f64_e64 v[36:37], v[4:5], -v[36:37]
	v_add_f64_e32 v[46:47], v[22:23], v[2:3]
	v_add_f64_e64 v[22:23], v[6:7], -v[22:23]
	;; [unrolled: 2-line block ×4, first 2 shown]
	v_mul_f64_e32 v[18:19], s[12:13], v[18:19]
	v_mul_f64_e32 v[26:27], s[10:11], v[26:27]
	;; [unrolled: 1-line block ×4, first 2 shown]
	v_add_f64_e32 v[4:5], v[44:45], v[4:5]
	v_add_f64_e32 v[6:7], v[46:47], v[6:7]
	;; [unrolled: 1-line block ×3, first 2 shown]
	v_add_f64_e64 v[10:11], v[28:29], -v[30:31]
	v_mul_f64_e32 v[28:29], s[18:19], v[12:13]
	v_mul_f64_e32 v[30:31], s[12:13], v[40:41]
	v_add_f64_e32 v[0:1], v[8:9], v[14:15]
	v_mul_f64_e32 v[40:41], s[4:5], v[42:43]
	v_add_f64_e64 v[8:9], v[32:33], -v[34:35]
	v_mul_f64_e32 v[32:33], s[18:19], v[20:21]
	v_fma_f64 v[34:35], v[36:37], s[22:23], v[18:19]
	v_fma_f64 v[12:13], v[12:13], s[18:19], v[24:25]
	;; [unrolled: 1-line block ×3, first 2 shown]
	v_fma_f64 v[36:37], v[36:37], s[24:25], -v[48:49]
	v_fma_f64 v[18:19], v[38:39], s[4:5], -v[18:19]
	v_fma_f64 v[16:17], v[16:17], s[14:15], v[2:3]
	v_fma_f64 v[24:25], v[10:11], s[20:21], -v[24:25]
	v_fma_f64 v[10:11], v[10:11], s[16:17], -v[28:29]
	v_fma_f64 v[28:29], v[22:23], s[22:23], v[30:31]
	v_fma_f64 v[14:15], v[14:15], s[14:15], v[0:1]
	v_fma_f64 v[22:23], v[22:23], s[24:25], -v[40:41]
	v_fma_f64 v[26:27], v[8:9], s[20:21], -v[26:27]
	;; [unrolled: 1-line block ×4, first 2 shown]
	v_fma_f64 v[32:33], v[4:5], s[26:27], v[34:35]
	v_fma_f64 v[34:35], v[4:5], s[26:27], v[36:37]
	;; [unrolled: 1-line block ×3, first 2 shown]
	v_add_f64_e32 v[12:13], v[12:13], v[16:17]
	v_add_f64_e32 v[24:25], v[24:25], v[16:17]
	;; [unrolled: 1-line block ×3, first 2 shown]
	v_fma_f64 v[28:29], v[6:7], s[26:27], v[28:29]
	v_add_f64_e32 v[38:39], v[20:21], v[14:15]
	v_fma_f64 v[36:37], v[6:7], s[26:27], v[22:23]
	v_add_f64_e32 v[40:41], v[26:27], v[14:15]
	;; [unrolled: 2-line block ×3, first 2 shown]
	v_add_f64_e64 v[26:27], v[12:13], -v[32:33]
	v_add_f64_e32 v[10:11], v[34:35], v[24:25]
	v_add_f64_e64 v[22:23], v[24:25], -v[34:35]
	v_add_f64_e64 v[14:15], v[16:17], -v[4:5]
	v_add_f64_e32 v[24:25], v[28:29], v[38:39]
	v_add_f64_e32 v[18:19], v[4:5], v[16:17]
	;; [unrolled: 1-line block ×4, first 2 shown]
	v_add_f64_e64 v[16:17], v[8:9], -v[30:31]
	v_add_f64_e32 v[12:13], v[30:31], v[8:9]
	v_add_f64_e64 v[8:9], v[40:41], -v[36:37]
	v_add_f64_e64 v[4:5], v[38:39], -v[28:29]
	v_and_b32_e32 v28, 0xffff, v64
	v_lshlrev_b32_e32 v29, 4, v65
	s_delay_alu instid0(VALU_DEP_2) | instskip(NEXT) | instid1(VALU_DEP_1)
	v_mul_u32_u24_e32 v28, 0xee0, v28
	v_add3_u32 v28, 0, v28, v29
	ds_store_b128 v28, v[0:3]
	ds_store_b128 v28, v[24:27] offset:544
	ds_store_b128 v28, v[20:23] offset:1088
	ds_store_b128 v28, v[16:19] offset:1632
	ds_store_b128 v28, v[12:15] offset:2176
	ds_store_b128 v28, v[8:11] offset:2720
	ds_store_b128 v28, v[4:7] offset:3264
.LBB0_25:
	s_wait_alu 0xfffe
	s_or_b32 exec_lo, exec_lo, s1
	v_mul_u32_u24_e32 v0, 5, v78
	global_wb scope:SCOPE_SE
	s_wait_dscnt 0x0
	s_barrier_signal -1
	s_barrier_wait -1
	global_inv scope:SCOPE_SE
	v_lshlrev_b32_e32 v36, 4, v0
	s_mov_b32 s0, 0xe8584caa
	s_mov_b32 s1, 0xbfebb67a
	;; [unrolled: 1-line block ×3, first 2 shown]
	s_wait_alu 0xfffe
	s_mov_b32 s4, s0
	s_clause 0x9
	global_load_b128 v[0:3], v36, s[8:9] offset:3568
	global_load_b128 v[4:7], v36, s[8:9] offset:3600
	;; [unrolled: 1-line block ×10, first 2 shown]
	ds_load_b128 v[40:43], v210 offset:11424
	ds_load_b128 v[44:47], v210 offset:19040
	;; [unrolled: 1-line block ×6, first 2 shown]
	s_wait_loadcnt_dscnt 0x905
	v_mul_f64_e32 v[64:65], v[40:41], v[2:3]
	s_wait_loadcnt_dscnt 0x804
	v_mul_f64_e32 v[66:67], v[44:45], v[6:7]
	;; [unrolled: 2-line block ×5, first 2 shown]
	v_mul_f64_e32 v[2:3], v[42:43], v[2:3]
	v_mul_f64_e32 v[6:7], v[46:47], v[6:7]
	s_wait_loadcnt_dscnt 0x400
	v_mul_f64_e32 v[88:89], v[60:61], v[22:23]
	v_mul_f64_e32 v[10:11], v[50:51], v[10:11]
	;; [unrolled: 1-line block ×5, first 2 shown]
	v_fma_f64 v[42:43], v[42:43], v[0:1], -v[64:65]
	v_fma_f64 v[46:47], v[46:47], v[4:5], -v[66:67]
	;; [unrolled: 1-line block ×4, first 2 shown]
	ds_load_b128 v[64:67], v210 offset:7616
	ds_load_b128 v[68:71], v210 offset:15232
	;; [unrolled: 1-line block ×4, first 2 shown]
	v_fma_f64 v[40:41], v[40:41], v[0:1], v[2:3]
	v_fma_f64 v[44:45], v[44:45], v[4:5], v[6:7]
	v_fma_f64 v[58:59], v[58:59], v[16:17], -v[86:87]
	v_fma_f64 v[8:9], v[48:49], v[8:9], v[10:11]
	v_fma_f64 v[10:11], v[52:53], v[12:13], v[14:15]
	v_fma_f64 v[12:13], v[62:63], v[20:21], -v[88:89]
	v_fma_f64 v[16:17], v[56:57], v[16:17], v[18:19]
	v_fma_f64 v[20:21], v[60:61], v[20:21], v[22:23]
	s_wait_loadcnt_dscnt 0x303
	v_mul_f64_e32 v[90:91], v[66:67], v[26:27]
	v_mul_f64_e32 v[26:27], v[64:65], v[26:27]
	s_wait_loadcnt_dscnt 0x202
	v_mul_f64_e32 v[92:93], v[70:71], v[30:31]
	v_mul_f64_e32 v[30:31], v[68:69], v[30:31]
	;; [unrolled: 3-line block ×4, first 2 shown]
	v_add_f64_e32 v[0:1], v[42:43], v[46:47]
	v_add_f64_e64 v[60:61], v[42:43], -v[46:47]
	v_add_f64_e32 v[14:15], v[50:51], v[54:55]
	v_add_f64_e32 v[18:19], v[40:41], v[44:45]
	v_add_f64_e64 v[22:23], v[8:9], -v[10:11]
	v_fma_f64 v[38:39], v[64:65], v[24:25], v[90:91]
	v_fma_f64 v[24:25], v[66:67], v[24:25], -v[26:27]
	v_fma_f64 v[26:27], v[68:69], v[28:29], v[92:93]
	v_fma_f64 v[28:29], v[70:71], v[28:29], -v[30:31]
	v_add_f64_e64 v[30:31], v[40:41], -v[44:45]
	v_fma_f64 v[48:49], v[72:73], v[32:33], v[2:3]
	v_fma_f64 v[32:33], v[74:75], v[32:33], -v[4:5]
	v_fma_f64 v[52:53], v[82:83], v[36:37], v[6:7]
	v_fma_f64 v[34:35], v[84:85], v[36:37], -v[34:35]
	v_add_f64_e32 v[4:5], v[8:9], v[10:11]
	v_add_f64_e64 v[68:69], v[50:51], -v[54:55]
	v_add_f64_e32 v[8:9], v[20:21], v[8:9]
	v_fma_f64 v[0:1], v[0:1], -0.5, v[58:59]
	v_fma_f64 v[14:15], v[14:15], -0.5, v[12:13]
	v_add_f64_e32 v[12:13], v[12:13], v[50:51]
	v_fma_f64 v[18:19], v[18:19], -0.5, v[16:17]
	v_add_f64_e32 v[16:17], v[16:17], v[40:41]
	v_add_f64_e32 v[40:41], v[58:59], v[42:43]
	;; [unrolled: 1-line block ×4, first 2 shown]
	v_add_f64_e64 v[74:75], v[24:25], -v[28:29]
	v_add_f64_e32 v[64:65], v[48:49], v[52:53]
	v_add_f64_e32 v[66:67], v[32:33], v[34:35]
	v_fma_f64 v[70:71], v[4:5], -0.5, v[20:21]
	v_add_f64_e64 v[58:59], v[32:33], -v[34:35]
	ds_load_b128 v[4:7], v210 offset:1904
	s_wait_alu 0xfffe
	v_fma_f64 v[62:63], v[30:31], s[4:5], v[0:1]
	v_fma_f64 v[30:31], v[30:31], s[0:1], v[0:1]
	;; [unrolled: 1-line block ×4, first 2 shown]
	ds_load_b128 v[0:3], v210
	v_fma_f64 v[20:21], v[60:61], s[0:1], v[18:19]
	v_fma_f64 v[18:19], v[60:61], s[4:5], v[18:19]
	v_add_f64_e32 v[16:17], v[16:17], v[44:45]
	global_wb scope:SCOPE_SE
	s_wait_dscnt 0x0
	s_barrier_signal -1
	s_barrier_wait -1
	global_inv scope:SCOPE_SE
	v_add_f64_e32 v[42:43], v[4:5], v[48:49]
	v_add_f64_e32 v[32:33], v[6:7], v[32:33]
	v_add_f64_e64 v[48:49], v[48:49], -v[52:53]
	v_add_f64_e32 v[22:23], v[0:1], v[38:39]
	v_add_f64_e32 v[24:25], v[2:3], v[24:25]
	v_add_f64_e64 v[38:39], v[38:39], -v[26:27]
	v_fma_f64 v[0:1], v[36:37], -0.5, v[0:1]
	v_fma_f64 v[2:3], v[56:57], -0.5, v[2:3]
	;; [unrolled: 1-line block ×4, first 2 shown]
	v_fma_f64 v[60:61], v[68:69], s[0:1], v[70:71]
	v_mul_f64_e32 v[36:37], s[0:1], v[62:63]
	v_mul_f64_e32 v[56:57], 0.5, v[62:63]
	v_mul_f64_e32 v[64:65], s[0:1], v[72:73]
	v_mul_f64_e32 v[66:67], 0.5, v[72:73]
	v_mul_f64_e32 v[50:51], s[0:1], v[30:31]
	v_mul_f64_e32 v[30:31], -0.5, v[30:31]
	v_fma_f64 v[62:63], v[68:69], s[4:5], v[70:71]
	v_mul_f64_e32 v[68:69], s[0:1], v[14:15]
	v_mul_f64_e32 v[14:15], -0.5, v[14:15]
	v_add_f64_e32 v[32:33], v[32:33], v[34:35]
	v_add_f64_e32 v[34:35], v[8:9], v[10:11]
	;; [unrolled: 1-line block ×7, first 2 shown]
	v_fma_f64 v[42:43], v[74:75], s[0:1], v[0:1]
	v_fma_f64 v[46:47], v[38:39], s[4:5], v[2:3]
	;; [unrolled: 1-line block ×5, first 2 shown]
	v_fma_f64 v[36:37], v[20:21], 0.5, v[36:37]
	v_fma_f64 v[52:53], v[20:21], s[4:5], v[56:57]
	v_fma_f64 v[56:57], v[58:59], s[4:5], v[4:5]
	;; [unrolled: 1-line block ×3, first 2 shown]
	v_fma_f64 v[64:65], v[60:61], 0.5, v[64:65]
	v_fma_f64 v[60:61], v[60:61], s[4:5], v[66:67]
	v_fma_f64 v[50:51], v[18:19], -0.5, v[50:51]
	v_fma_f64 v[30:31], v[18:19], s[4:5], v[30:31]
	v_fma_f64 v[48:49], v[48:49], s[0:1], v[6:7]
	v_fma_f64 v[66:67], v[62:63], -0.5, v[68:69]
	v_fma_f64 v[62:63], v[62:63], s[4:5], v[14:15]
	v_add_f64_e32 v[0:1], v[22:23], v[16:17]
	v_add_f64_e64 v[4:5], v[22:23], -v[16:17]
	v_add_f64_e32 v[2:3], v[24:25], v[26:27]
	v_add_f64_e32 v[8:9], v[28:29], v[34:35]
	;; [unrolled: 1-line block ×3, first 2 shown]
	v_add_f64_e64 v[6:7], v[24:25], -v[26:27]
	v_add_f64_e64 v[12:13], v[28:29], -v[34:35]
	;; [unrolled: 1-line block ×3, first 2 shown]
	v_add_f64_e32 v[16:17], v[42:43], v[36:37]
	v_add_f64_e32 v[18:19], v[46:47], v[52:53]
	v_add_f64_e64 v[24:25], v[42:43], -v[36:37]
	v_add_f64_e64 v[26:27], v[46:47], -v[52:53]
	v_add_f64_e32 v[32:33], v[54:55], v[64:65]
	v_add_f64_e32 v[34:35], v[58:59], v[60:61]
	;; [unrolled: 1-line block ×4, first 2 shown]
	v_add_f64_e64 v[30:31], v[38:39], -v[30:31]
	v_add_f64_e32 v[36:37], v[56:57], v[66:67]
	v_add_f64_e32 v[38:39], v[48:49], v[62:63]
	v_add_f64_e64 v[40:41], v[54:55], -v[64:65]
	v_add_f64_e64 v[42:43], v[58:59], -v[60:61]
	;; [unrolled: 1-line block ×5, first 2 shown]
	ds_store_b128 v210, v[0:3]
	ds_store_b128 v210, v[8:11] offset:1904
	ds_store_b128 v210, v[4:7] offset:11424
	;; [unrolled: 1-line block ×11, first 2 shown]
	global_wb scope:SCOPE_SE
	s_wait_dscnt 0x0
	s_barrier_signal -1
	s_barrier_wait -1
	global_inv scope:SCOPE_SE
	s_and_saveexec_b32 s0, vcc_lo
	s_cbranch_execz .LBB0_27
; %bb.26:
	v_mul_lo_u32 v2, s3, v80
	v_mul_lo_u32 v3, s2, v81
	v_mad_co_u64_u32 v[0:1], null, s2, v80, 0
	v_lshl_add_u32 v34, v78, 4, 0
	v_dual_mov_b32 v79, 0 :: v_dual_add_nc_u32 v12, 0x77, v78
	v_lshlrev_b64_e32 v[8:9], 4, v[76:77]
	v_add_nc_u32_e32 v22, 0x253, v78
	s_delay_alu instid0(VALU_DEP_3) | instskip(SKIP_4) | instid1(VALU_DEP_4)
	v_dual_mov_b32 v25, v79 :: v_dual_add_nc_u32 v24, 0x2ca, v78
	v_add3_u32 v1, v1, v3, v2
	v_mov_b32_e32 v13, v79
	v_lshlrev_b64_e32 v[14:15], 4, v[78:79]
	v_mov_b32_e32 v23, v79
	v_lshlrev_b64_e32 v[10:11], 4, v[0:1]
	ds_load_b128 v[0:3], v34
	ds_load_b128 v[4:7], v34 offset:1904
	v_lshlrev_b64_e32 v[22:23], 4, v[22:23]
	v_add_co_u32 v10, vcc_lo, s6, v10
	s_wait_alu 0xfffd
	v_add_co_ci_u32_e32 v11, vcc_lo, s7, v11, vcc_lo
	s_delay_alu instid0(VALU_DEP_2) | instskip(SKIP_1) | instid1(VALU_DEP_2)
	v_add_co_u32 v36, vcc_lo, v10, v8
	s_wait_alu 0xfffd
	v_add_co_ci_u32_e32 v37, vcc_lo, v11, v9, vcc_lo
	v_lshlrev_b64_e32 v[8:9], 4, v[12:13]
	v_add_nc_u32_e32 v12, 0xee, v78
	v_add_co_u32 v10, vcc_lo, v36, v14
	s_wait_alu 0xfffd
	v_add_co_ci_u32_e32 v11, vcc_lo, v37, v15, vcc_lo
	s_delay_alu instid0(VALU_DEP_4)
	v_add_co_u32 v8, vcc_lo, v36, v8
	s_wait_alu 0xfffd
	v_add_co_ci_u32_e32 v9, vcc_lo, v37, v9, vcc_lo
	s_wait_dscnt 0x1
	global_store_b128 v[10:11], v[0:3], off
	s_wait_dscnt 0x0
	global_store_b128 v[8:9], v[4:7], off
	v_lshlrev_b64_e32 v[0:1], 4, v[12:13]
	v_dual_mov_b32 v9, v79 :: v_dual_add_nc_u32 v8, 0x165, v78
	v_dual_mov_b32 v11, v79 :: v_dual_add_nc_u32 v10, 0x1dc, v78
	s_delay_alu instid0(VALU_DEP_3) | instskip(SKIP_1) | instid1(VALU_DEP_4)
	v_add_co_u32 v16, vcc_lo, v36, v0
	s_wait_alu 0xfffd
	v_add_co_ci_u32_e32 v17, vcc_lo, v37, v1, vcc_lo
	ds_load_b128 v[0:3], v34 offset:3808
	ds_load_b128 v[4:7], v34 offset:5712
	v_lshlrev_b64_e32 v[18:19], 4, v[8:9]
	v_lshlrev_b64_e32 v[20:21], 4, v[10:11]
	ds_load_b128 v[8:11], v34 offset:7616
	ds_load_b128 v[12:15], v34 offset:9520
	v_add_co_u32 v18, vcc_lo, v36, v18
	s_wait_alu 0xfffd
	v_add_co_ci_u32_e32 v19, vcc_lo, v37, v19, vcc_lo
	v_add_co_u32 v20, vcc_lo, v36, v20
	s_wait_alu 0xfffd
	v_add_co_ci_u32_e32 v21, vcc_lo, v37, v21, vcc_lo
	v_add_co_u32 v22, vcc_lo, v36, v22
	s_wait_dscnt 0x3
	global_store_b128 v[16:17], v[0:3], off
	s_wait_dscnt 0x2
	global_store_b128 v[18:19], v[4:7], off
	v_dual_mov_b32 v3, v79 :: v_dual_add_nc_u32 v2, 0x341, v78
	s_wait_alu 0xfffd
	v_add_co_ci_u32_e32 v23, vcc_lo, v37, v23, vcc_lo
	v_lshlrev_b64_e32 v[0:1], 4, v[24:25]
	s_wait_dscnt 0x1
	global_store_b128 v[20:21], v[8:11], off
	s_wait_dscnt 0x0
	global_store_b128 v[22:23], v[12:15], off
	v_lshlrev_b64_e32 v[8:9], 4, v[2:3]
	v_dual_mov_b32 v11, v79 :: v_dual_add_nc_u32 v10, 0x3b8, v78
	v_add_co_u32 v24, vcc_lo, v36, v0
	s_wait_alu 0xfffd
	v_add_co_ci_u32_e32 v25, vcc_lo, v37, v1, vcc_lo
	s_delay_alu instid0(VALU_DEP_4)
	v_add_co_u32 v26, vcc_lo, v36, v8
	s_wait_alu 0xfffd
	v_add_co_ci_u32_e32 v27, vcc_lo, v37, v9, vcc_lo
	v_lshlrev_b64_e32 v[8:9], 4, v[10:11]
	v_dual_mov_b32 v17, v79 :: v_dual_add_nc_u32 v16, 0x42f, v78
	v_dual_mov_b32 v19, v79 :: v_dual_add_nc_u32 v18, 0x4a6, v78
	ds_load_b128 v[0:3], v34 offset:11424
	ds_load_b128 v[4:7], v34 offset:13328
	v_add_co_u32 v28, vcc_lo, v36, v8
	s_wait_alu 0xfffd
	v_add_co_ci_u32_e32 v29, vcc_lo, v37, v9, vcc_lo
	ds_load_b128 v[8:11], v34 offset:15232
	ds_load_b128 v[12:15], v34 offset:17136
	v_lshlrev_b64_e32 v[30:31], 4, v[16:17]
	v_lshlrev_b64_e32 v[32:33], 4, v[18:19]
	ds_load_b128 v[16:19], v34 offset:19040
	ds_load_b128 v[20:23], v34 offset:20944
	v_add_nc_u32_e32 v78, 0x51d, v78
	v_add_co_u32 v30, vcc_lo, v36, v30
	s_delay_alu instid0(VALU_DEP_2)
	v_lshlrev_b64_e32 v[34:35], 4, v[78:79]
	s_wait_alu 0xfffd
	v_add_co_ci_u32_e32 v31, vcc_lo, v37, v31, vcc_lo
	v_add_co_u32 v32, vcc_lo, v36, v32
	s_wait_alu 0xfffd
	v_add_co_ci_u32_e32 v33, vcc_lo, v37, v33, vcc_lo
	v_add_co_u32 v34, vcc_lo, v36, v34
	s_wait_alu 0xfffd
	v_add_co_ci_u32_e32 v35, vcc_lo, v37, v35, vcc_lo
	s_wait_dscnt 0x5
	global_store_b128 v[24:25], v[0:3], off
	s_wait_dscnt 0x4
	global_store_b128 v[26:27], v[4:7], off
	;; [unrolled: 2-line block ×6, first 2 shown]
.LBB0_27:
	s_nop 0
	s_sendmsg sendmsg(MSG_DEALLOC_VGPRS)
	s_endpgm
	.section	.rodata,"a",@progbits
	.p2align	6, 0x0
	.amdhsa_kernel fft_rtc_back_len1428_factors_17_2_7_6_wgs_119_tpt_119_halfLds_dp_op_CI_CI_unitstride_sbrr_C2R_dirReg
		.amdhsa_group_segment_fixed_size 0
		.amdhsa_private_segment_fixed_size 20
		.amdhsa_kernarg_size 104
		.amdhsa_user_sgpr_count 2
		.amdhsa_user_sgpr_dispatch_ptr 0
		.amdhsa_user_sgpr_queue_ptr 0
		.amdhsa_user_sgpr_kernarg_segment_ptr 1
		.amdhsa_user_sgpr_dispatch_id 0
		.amdhsa_user_sgpr_private_segment_size 0
		.amdhsa_wavefront_size32 1
		.amdhsa_uses_dynamic_stack 0
		.amdhsa_enable_private_segment 1
		.amdhsa_system_sgpr_workgroup_id_x 1
		.amdhsa_system_sgpr_workgroup_id_y 0
		.amdhsa_system_sgpr_workgroup_id_z 0
		.amdhsa_system_sgpr_workgroup_info 0
		.amdhsa_system_vgpr_workitem_id 0
		.amdhsa_next_free_vgpr 255
		.amdhsa_next_free_sgpr 56
		.amdhsa_reserve_vcc 1
		.amdhsa_float_round_mode_32 0
		.amdhsa_float_round_mode_16_64 0
		.amdhsa_float_denorm_mode_32 3
		.amdhsa_float_denorm_mode_16_64 3
		.amdhsa_fp16_overflow 0
		.amdhsa_workgroup_processor_mode 1
		.amdhsa_memory_ordered 1
		.amdhsa_forward_progress 0
		.amdhsa_round_robin_scheduling 0
		.amdhsa_exception_fp_ieee_invalid_op 0
		.amdhsa_exception_fp_denorm_src 0
		.amdhsa_exception_fp_ieee_div_zero 0
		.amdhsa_exception_fp_ieee_overflow 0
		.amdhsa_exception_fp_ieee_underflow 0
		.amdhsa_exception_fp_ieee_inexact 0
		.amdhsa_exception_int_div_zero 0
	.end_amdhsa_kernel
	.text
.Lfunc_end0:
	.size	fft_rtc_back_len1428_factors_17_2_7_6_wgs_119_tpt_119_halfLds_dp_op_CI_CI_unitstride_sbrr_C2R_dirReg, .Lfunc_end0-fft_rtc_back_len1428_factors_17_2_7_6_wgs_119_tpt_119_halfLds_dp_op_CI_CI_unitstride_sbrr_C2R_dirReg
                                        ; -- End function
	.section	.AMDGPU.csdata,"",@progbits
; Kernel info:
; codeLenInByte = 13656
; NumSgprs: 58
; NumVgprs: 255
; ScratchSize: 20
; MemoryBound: 0
; FloatMode: 240
; IeeeMode: 1
; LDSByteSize: 0 bytes/workgroup (compile time only)
; SGPRBlocks: 7
; VGPRBlocks: 31
; NumSGPRsForWavesPerEU: 58
; NumVGPRsForWavesPerEU: 255
; Occupancy: 5
; WaveLimiterHint : 1
; COMPUTE_PGM_RSRC2:SCRATCH_EN: 1
; COMPUTE_PGM_RSRC2:USER_SGPR: 2
; COMPUTE_PGM_RSRC2:TRAP_HANDLER: 0
; COMPUTE_PGM_RSRC2:TGID_X_EN: 1
; COMPUTE_PGM_RSRC2:TGID_Y_EN: 0
; COMPUTE_PGM_RSRC2:TGID_Z_EN: 0
; COMPUTE_PGM_RSRC2:TIDIG_COMP_CNT: 0
	.text
	.p2alignl 7, 3214868480
	.fill 96, 4, 3214868480
	.type	__hip_cuid_bbb9eadd94a88a9f,@object ; @__hip_cuid_bbb9eadd94a88a9f
	.section	.bss,"aw",@nobits
	.globl	__hip_cuid_bbb9eadd94a88a9f
__hip_cuid_bbb9eadd94a88a9f:
	.byte	0                               ; 0x0
	.size	__hip_cuid_bbb9eadd94a88a9f, 1

	.ident	"AMD clang version 19.0.0git (https://github.com/RadeonOpenCompute/llvm-project roc-6.4.0 25133 c7fe45cf4b819c5991fe208aaa96edf142730f1d)"
	.section	".note.GNU-stack","",@progbits
	.addrsig
	.addrsig_sym __hip_cuid_bbb9eadd94a88a9f
	.amdgpu_metadata
---
amdhsa.kernels:
  - .args:
      - .actual_access:  read_only
        .address_space:  global
        .offset:         0
        .size:           8
        .value_kind:     global_buffer
      - .offset:         8
        .size:           8
        .value_kind:     by_value
      - .actual_access:  read_only
        .address_space:  global
        .offset:         16
        .size:           8
        .value_kind:     global_buffer
      - .actual_access:  read_only
        .address_space:  global
        .offset:         24
        .size:           8
        .value_kind:     global_buffer
      - .actual_access:  read_only
        .address_space:  global
        .offset:         32
        .size:           8
        .value_kind:     global_buffer
      - .offset:         40
        .size:           8
        .value_kind:     by_value
      - .actual_access:  read_only
        .address_space:  global
        .offset:         48
        .size:           8
        .value_kind:     global_buffer
      - .actual_access:  read_only
        .address_space:  global
        .offset:         56
        .size:           8
        .value_kind:     global_buffer
      - .offset:         64
        .size:           4
        .value_kind:     by_value
      - .actual_access:  read_only
        .address_space:  global
        .offset:         72
        .size:           8
        .value_kind:     global_buffer
      - .actual_access:  read_only
        .address_space:  global
        .offset:         80
        .size:           8
        .value_kind:     global_buffer
      - .actual_access:  read_only
        .address_space:  global
        .offset:         88
        .size:           8
        .value_kind:     global_buffer
      - .actual_access:  write_only
        .address_space:  global
        .offset:         96
        .size:           8
        .value_kind:     global_buffer
    .group_segment_fixed_size: 0
    .kernarg_segment_align: 8
    .kernarg_segment_size: 104
    .language:       OpenCL C
    .language_version:
      - 2
      - 0
    .max_flat_workgroup_size: 119
    .name:           fft_rtc_back_len1428_factors_17_2_7_6_wgs_119_tpt_119_halfLds_dp_op_CI_CI_unitstride_sbrr_C2R_dirReg
    .private_segment_fixed_size: 20
    .sgpr_count:     58
    .sgpr_spill_count: 0
    .symbol:         fft_rtc_back_len1428_factors_17_2_7_6_wgs_119_tpt_119_halfLds_dp_op_CI_CI_unitstride_sbrr_C2R_dirReg.kd
    .uniform_work_group_size: 1
    .uses_dynamic_stack: false
    .vgpr_count:     255
    .vgpr_spill_count: 4
    .wavefront_size: 32
    .workgroup_processor_mode: 1
amdhsa.target:   amdgcn-amd-amdhsa--gfx1201
amdhsa.version:
  - 1
  - 2
...

	.end_amdgpu_metadata
